;; amdgpu-corpus repo=ROCm/rocFFT kind=compiled arch=gfx1201 opt=O3
	.text
	.amdgcn_target "amdgcn-amd-amdhsa--gfx1201"
	.amdhsa_code_object_version 6
	.protected	bluestein_single_back_len507_dim1_dp_op_CI_CI ; -- Begin function bluestein_single_back_len507_dim1_dp_op_CI_CI
	.globl	bluestein_single_back_len507_dim1_dp_op_CI_CI
	.p2align	8
	.type	bluestein_single_back_len507_dim1_dp_op_CI_CI,@function
bluestein_single_back_len507_dim1_dp_op_CI_CI: ; @bluestein_single_back_len507_dim1_dp_op_CI_CI
; %bb.0:
	s_load_b128 s[16:19], s[0:1], 0x28
	v_mul_u32_u24_e32 v1, 0x691, v0
	s_mov_b32 s2, exec_lo
	s_delay_alu instid0(VALU_DEP_1) | instskip(NEXT) | instid1(VALU_DEP_1)
	v_lshrrev_b32_e32 v1, 16, v1
	v_mad_co_u64_u32 v[200:201], null, ttmp9, 3, v[1:2]
	v_mov_b32_e32 v201, 0
                                        ; kill: def $vgpr2 killed $sgpr0 killed $exec
	s_wait_kmcnt 0x0
	s_delay_alu instid0(VALU_DEP_1)
	v_cmpx_gt_u64_e64 s[16:17], v[200:201]
	s_cbranch_execz .LBB0_10
; %bb.1:
	s_clause 0x1
	s_load_b128 s[4:7], s[0:1], 0x18
	s_load_b128 s[8:11], s[0:1], 0x0
	v_mul_lo_u16 v1, v1, 39
	s_mov_b32 s28, 0x42a4c3d2
	s_mov_b32 s26, 0x66966769
	;; [unrolled: 1-line block ×4, first 2 shown]
	v_sub_nc_u16 v4, v0, v1
	s_mov_b32 s16, 0x4bc48dbf
	s_mov_b32 s35, 0xbfddbe06
	;; [unrolled: 1-line block ×4, first 2 shown]
	v_and_b32_e32 v37, 0xffff, v4
	s_mov_b32 s27, 0xbfefc445
	s_mov_b32 s25, 0xbfedeba7
	;; [unrolled: 1-line block ×4, first 2 shown]
	v_lshlrev_b32_e32 v255, 4, v37
	s_mov_b32 s30, 0xe00740e9
	s_mov_b32 s20, 0x1ea71119
	s_wait_kmcnt 0x0
	s_load_b128 s[12:15], s[4:5], 0x0
	s_mov_b32 s31, 0x3fec55a7
	s_mov_b32 s21, 0x3fe22d96
	;; [unrolled: 1-line block ×8, first 2 shown]
	s_load_b64 s[0:1], s[0:1], 0x38
	s_wait_kmcnt 0x0
	v_mad_co_u64_u32 v[0:1], null, s14, v200, 0
	v_mad_co_u64_u32 v[2:3], null, s12, v37, 0
	s_mul_u64 s[2:3], s[12:13], 0x270
	s_delay_alu instid0(VALU_DEP_1) | instskip(NEXT) | instid1(VALU_DEP_2)
	v_mad_co_u64_u32 v[5:6], null, s15, v200, v[1:2]
	v_mad_co_u64_u32 v[6:7], null, s13, v37, v[3:4]
	s_mov_b32 s14, 0xb2365da1
	s_mov_b32 s12, 0xd0032e0c
	;; [unrolled: 1-line block ×4, first 2 shown]
	s_delay_alu instid0(VALU_DEP_2) | instskip(NEXT) | instid1(VALU_DEP_2)
	v_mov_b32_e32 v1, v5
	v_mov_b32_e32 v3, v6
	s_delay_alu instid0(VALU_DEP_2) | instskip(NEXT) | instid1(VALU_DEP_2)
	v_lshlrev_b64_e32 v[0:1], 4, v[0:1]
	v_lshlrev_b64_e32 v[2:3], 4, v[2:3]
	s_delay_alu instid0(VALU_DEP_2) | instskip(NEXT) | instid1(VALU_DEP_3)
	v_add_co_u32 v0, vcc_lo, s18, v0
	v_add_co_ci_u32_e32 v1, vcc_lo, s19, v1, vcc_lo
	s_mov_b32 s18, 0xebaa3ed8
	s_delay_alu instid0(VALU_DEP_2) | instskip(SKIP_1) | instid1(VALU_DEP_2)
	v_add_co_u32 v5, vcc_lo, v0, v2
	s_wait_alu 0xfffd
	v_add_co_ci_u32_e32 v6, vcc_lo, v1, v3, vcc_lo
	s_mov_b32 s19, 0x3fbedb7d
	s_delay_alu instid0(VALU_DEP_2) | instskip(SKIP_1) | instid1(VALU_DEP_2)
	v_add_co_u32 v9, vcc_lo, v5, s2
	s_wait_alu 0xfffd
	v_add_co_ci_u32_e32 v10, vcc_lo, s3, v6, vcc_lo
	global_load_b128 v[0:3], v[5:6], off
	s_clause 0x1
	global_load_b128 v[27:30], v255, s[8:9]
	global_load_b128 v[23:26], v255, s[8:9] offset:624
	global_load_b128 v[5:8], v[9:10], off
	v_add_co_u32 v13, vcc_lo, v9, s2
	s_wait_alu 0xfffd
	v_add_co_ci_u32_e32 v14, vcc_lo, s3, v10, vcc_lo
	global_load_b128 v[9:12], v[13:14], off
	s_clause 0x1
	global_load_b128 v[31:34], v255, s[8:9] offset:1248
	global_load_b128 v[38:41], v255, s[8:9] offset:1872
	s_wait_loadcnt 0x5
	scratch_store_b128 off, v[27:30], off offset:20 ; 16-byte Folded Spill
	s_wait_loadcnt 0x4
	scratch_store_b128 off, v[23:26], off offset:4 ; 16-byte Folded Spill
	v_mul_f64_e32 v[15:16], v[2:3], v[29:30]
	v_mul_f64_e32 v[17:18], v[0:1], v[29:30]
	s_wait_loadcnt 0x3
	v_mul_f64_e32 v[19:20], v[7:8], v[25:26]
	v_mul_f64_e32 v[21:22], v[5:6], v[25:26]
	s_wait_loadcnt 0x1
	scratch_store_b128 off, v[31:34], off offset:36 ; 16-byte Folded Spill
	s_wait_loadcnt 0x0
	scratch_store_b128 off, v[38:41], off offset:56 ; 16-byte Folded Spill
	v_fma_f64 v[0:1], v[0:1], v[27:28], v[15:16]
	v_mul_f64_e32 v[15:16], v[11:12], v[33:34]
	v_fma_f64 v[2:3], v[2:3], v[27:28], -v[17:18]
	v_fma_f64 v[5:6], v[5:6], v[23:24], v[19:20]
	v_mul_f64_e32 v[17:18], v[9:10], v[33:34]
	v_add_co_u32 v19, vcc_lo, v13, s2
	s_wait_alu 0xfffd
	v_add_co_ci_u32_e32 v20, vcc_lo, s3, v14, vcc_lo
	v_fma_f64 v[7:8], v[7:8], v[23:24], -v[21:22]
	v_fma_f64 v[9:10], v[9:10], v[31:32], v[15:16]
	global_load_b128 v[13:16], v[19:20], off
	v_fma_f64 v[11:12], v[11:12], v[31:32], -v[17:18]
	v_add_co_u32 v17, vcc_lo, v19, s2
	s_wait_alu 0xfffd
	v_add_co_ci_u32_e32 v18, vcc_lo, s3, v20, vcc_lo
	global_load_b128 v[24:27], v[17:18], off
	s_clause 0x1
	global_load_b128 v[28:31], v255, s[8:9] offset:2496
	global_load_b128 v[32:35], v255, s[8:9] offset:3120
	v_add_co_u32 v17, vcc_lo, v17, s2
	s_wait_alu 0xfffd
	v_add_co_ci_u32_e32 v18, vcc_lo, s3, v18, vcc_lo
	s_wait_loadcnt 0x3
	v_mul_f64_e32 v[19:20], v[15:16], v[40:41]
	v_mul_f64_e32 v[21:22], v[13:14], v[40:41]
	s_wait_loadcnt 0x1
	scratch_store_b128 off, v[28:31], off offset:72 ; 16-byte Folded Spill
	s_wait_loadcnt 0x0
	scratch_store_b128 off, v[32:35], off offset:88 ; 16-byte Folded Spill
	v_fma_f64 v[13:14], v[13:14], v[38:39], v[19:20]
	v_fma_f64 v[15:16], v[15:16], v[38:39], -v[21:22]
	v_mul_f64_e32 v[19:20], v[26:27], v[30:31]
	v_mul_f64_e32 v[21:22], v[24:25], v[30:31]
	s_delay_alu instid0(VALU_DEP_2) | instskip(NEXT) | instid1(VALU_DEP_2)
	v_fma_f64 v[52:53], v[24:25], v[28:29], v[19:20]
	v_fma_f64 v[54:55], v[26:27], v[28:29], -v[21:22]
	global_load_b128 v[24:27], v[17:18], off
	v_add_co_u32 v17, vcc_lo, v17, s2
	s_wait_alu 0xfffd
	v_add_co_ci_u32_e32 v18, vcc_lo, s3, v18, vcc_lo
	s_wait_loadcnt 0x0
	v_mul_f64_e32 v[19:20], v[26:27], v[34:35]
	v_mul_f64_e32 v[21:22], v[24:25], v[34:35]
	s_delay_alu instid0(VALU_DEP_2) | instskip(NEXT) | instid1(VALU_DEP_2)
	v_fma_f64 v[56:57], v[24:25], v[32:33], v[19:20]
	v_fma_f64 v[58:59], v[26:27], v[32:33], -v[21:22]
	global_load_b128 v[32:35], v[17:18], off
	s_clause 0x1
	global_load_b128 v[23:26], v255, s[8:9] offset:3744
	global_load_b128 v[27:30], v255, s[8:9] offset:4368
	v_add_co_u32 v17, vcc_lo, v17, s2
	s_wait_alu 0xfffd
	v_add_co_ci_u32_e32 v18, vcc_lo, s3, v18, vcc_lo
	s_wait_loadcnt 0x1
	v_mul_f64_e32 v[19:20], v[34:35], v[25:26]
	v_mul_f64_e32 v[21:22], v[32:33], v[25:26]
	scratch_store_b128 off, v[23:26], off offset:104 ; 16-byte Folded Spill
	s_wait_loadcnt 0x0
	scratch_store_b128 off, v[27:30], off offset:120 ; 16-byte Folded Spill
	v_fma_f64 v[60:61], v[32:33], v[23:24], v[19:20]
	v_fma_f64 v[62:63], v[34:35], v[23:24], -v[21:22]
	global_load_b128 v[32:35], v[17:18], off
	v_add_co_u32 v17, vcc_lo, v17, s2
	s_wait_alu 0xfffd
	v_add_co_ci_u32_e32 v18, vcc_lo, s3, v18, vcc_lo
	s_wait_loadcnt 0x0
	v_mul_f64_e32 v[19:20], v[34:35], v[29:30]
	v_mul_f64_e32 v[21:22], v[32:33], v[29:30]
	s_delay_alu instid0(VALU_DEP_2) | instskip(NEXT) | instid1(VALU_DEP_2)
	v_fma_f64 v[64:65], v[32:33], v[27:28], v[19:20]
	v_fma_f64 v[66:67], v[34:35], v[27:28], -v[21:22]
	global_load_b128 v[40:43], v[17:18], off
	s_clause 0x1
	global_load_b128 v[23:26], v255, s[8:9] offset:4992
	global_load_b128 v[27:30], v255, s[8:9] offset:5616
	v_add_co_u32 v17, vcc_lo, v17, s2
	s_wait_alu 0xfffd
	v_add_co_ci_u32_e32 v18, vcc_lo, s3, v18, vcc_lo
	s_wait_loadcnt 0x1
	v_mul_f64_e32 v[19:20], v[42:43], v[25:26]
	v_mul_f64_e32 v[21:22], v[40:41], v[25:26]
	scratch_store_b128 off, v[23:26], off offset:136 ; 16-byte Folded Spill
	s_wait_loadcnt 0x0
	scratch_store_b128 off, v[27:30], off offset:152 ; 16-byte Folded Spill
	v_fma_f64 v[68:69], v[40:41], v[23:24], v[19:20]
	v_fma_f64 v[70:71], v[42:43], v[23:24], -v[21:22]
	global_load_b128 v[40:43], v[17:18], off
	v_add_co_u32 v17, vcc_lo, v17, s2
	s_wait_alu 0xfffd
	v_add_co_ci_u32_e32 v18, vcc_lo, s3, v18, vcc_lo
	s_wait_loadcnt 0x0
	v_mul_f64_e32 v[19:20], v[42:43], v[29:30]
	v_mul_f64_e32 v[21:22], v[40:41], v[29:30]
	s_delay_alu instid0(VALU_DEP_2) | instskip(NEXT) | instid1(VALU_DEP_2)
	v_fma_f64 v[72:73], v[40:41], v[27:28], v[19:20]
	v_fma_f64 v[74:75], v[42:43], v[27:28], -v[21:22]
	global_load_b128 v[48:51], v[17:18], off
	s_clause 0x1
	global_load_b128 v[40:43], v255, s[8:9] offset:6240
	global_load_b128 v[44:47], v255, s[8:9] offset:6864
	v_add_co_u32 v17, vcc_lo, v17, s2
	s_wait_alu 0xfffd
	v_add_co_ci_u32_e32 v18, vcc_lo, s3, v18, vcc_lo
	s_wait_loadcnt 0x1
	v_mul_f64_e32 v[19:20], v[50:51], v[42:43]
	v_mul_f64_e32 v[21:22], v[48:49], v[42:43]
	s_delay_alu instid0(VALU_DEP_2) | instskip(NEXT) | instid1(VALU_DEP_2)
	v_fma_f64 v[76:77], v[48:49], v[40:41], v[19:20]
	v_fma_f64 v[78:79], v[50:51], v[40:41], -v[21:22]
	global_load_b128 v[48:51], v[17:18], off
	v_add_co_u32 v17, vcc_lo, v17, s2
	s_wait_alu 0xfffd
	v_add_co_ci_u32_e32 v18, vcc_lo, s3, v18, vcc_lo
	s_mov_b32 s2, 0x93053d00
	s_mov_b32 s3, 0xbfef11f4
	v_cmp_gt_u16_e32 vcc_lo, 13, v4
	s_wait_loadcnt 0x0
	v_mul_f64_e32 v[19:20], v[50:51], v[46:47]
	v_mul_f64_e32 v[21:22], v[48:49], v[46:47]
	s_delay_alu instid0(VALU_DEP_2) | instskip(NEXT) | instid1(VALU_DEP_2)
	v_fma_f64 v[80:81], v[48:49], v[44:45], v[19:20]
	v_fma_f64 v[82:83], v[50:51], v[44:45], -v[21:22]
	global_load_b128 v[84:87], v[17:18], off
	global_load_b128 v[48:51], v255, s[8:9] offset:7488
	s_wait_loadcnt 0x0
	v_mul_f64_e32 v[17:18], v[86:87], v[50:51]
	v_mul_f64_e32 v[19:20], v[84:85], v[50:51]
	s_delay_alu instid0(VALU_DEP_2) | instskip(SKIP_1) | instid1(VALU_DEP_3)
	v_fma_f64 v[84:85], v[84:85], v[48:49], v[17:18]
	v_mul_hi_u32 v17, 0xaaaaaaab, v200
	v_fma_f64 v[86:87], v[86:87], v[48:49], -v[19:20]
	s_delay_alu instid0(VALU_DEP_2) | instskip(NEXT) | instid1(VALU_DEP_1)
	v_lshrrev_b32_e32 v17, 1, v17
	v_lshl_add_u32 v17, v17, 1, v17
	s_delay_alu instid0(VALU_DEP_1) | instskip(NEXT) | instid1(VALU_DEP_1)
	v_sub_nc_u32_e32 v17, v200, v17
	v_mul_u32_u24_e32 v17, 0x1fb, v17
	s_delay_alu instid0(VALU_DEP_1) | instskip(NEXT) | instid1(VALU_DEP_1)
	v_lshlrev_b32_e32 v28, 4, v17
	v_add_nc_u32_e32 v19, v255, v28
	ds_store_b128 v19, v[0:3]
	ds_store_b128 v19, v[5:8] offset:624
	ds_store_b128 v19, v[9:12] offset:1248
	;; [unrolled: 1-line block ×12, first 2 shown]
	s_load_b128 s[4:7], s[6:7], 0x0
	global_wb scope:SCOPE_SE
	s_wait_storecnt_dscnt 0x0
	s_wait_kmcnt 0x0
	s_barrier_signal -1
	s_barrier_wait -1
	global_inv scope:SCOPE_SE
	ds_load_b128 v[52:55], v19
	ds_load_b128 v[56:59], v19 offset:624
	ds_load_b128 v[60:63], v19 offset:1248
	;; [unrolled: 1-line block ×7, first 2 shown]
	s_wait_dscnt 0x6
	v_add_f64_e32 v[0:1], v[52:53], v[56:57]
	v_add_f64_e32 v[2:3], v[54:55], v[58:59]
	s_wait_dscnt 0x0
	v_add_f64_e64 v[76:77], v[5:6], -v[9:10]
	v_add_f64_e64 v[78:79], v[7:8], -v[11:12]
	s_delay_alu instid0(VALU_DEP_4) | instskip(NEXT) | instid1(VALU_DEP_4)
	v_add_f64_e32 v[0:1], v[0:1], v[60:61]
	v_add_f64_e32 v[2:3], v[2:3], v[62:63]
	s_delay_alu instid0(VALU_DEP_4) | instskip(NEXT) | instid1(VALU_DEP_4)
	v_mul_f64_e32 v[166:167], s[22:23], v[76:77]
	v_mul_f64_e32 v[164:165], s[22:23], v[78:79]
	;; [unrolled: 1-line block ×4, first 2 shown]
	v_add_f64_e32 v[0:1], v[0:1], v[64:65]
	v_add_f64_e32 v[2:3], v[2:3], v[66:67]
	s_delay_alu instid0(VALU_DEP_2) | instskip(NEXT) | instid1(VALU_DEP_2)
	v_add_f64_e32 v[0:1], v[0:1], v[68:69]
	v_add_f64_e32 v[2:3], v[2:3], v[70:71]
	s_delay_alu instid0(VALU_DEP_2) | instskip(NEXT) | instid1(VALU_DEP_2)
	;; [unrolled: 3-line block ×3, first 2 shown]
	v_add_f64_e32 v[13:14], v[0:1], v[5:6]
	v_add_f64_e32 v[15:16], v[2:3], v[7:8]
	;; [unrolled: 1-line block ×4, first 2 shown]
	s_delay_alu instid0(VALU_DEP_4) | instskip(NEXT) | instid1(VALU_DEP_4)
	v_add_f64_e32 v[13:14], v[13:14], v[9:10]
	v_add_f64_e32 v[15:16], v[15:16], v[11:12]
	ds_load_b128 v[5:8], v19 offset:4992
	ds_load_b128 v[9:12], v19 offset:5616
	s_wait_dscnt 0x1
	v_add_f64_e32 v[80:81], v[72:73], v[5:6]
	v_add_f64_e32 v[82:83], v[74:75], v[7:8]
	v_add_f64_e64 v[84:85], v[72:73], -v[5:6]
	v_add_f64_e64 v[86:87], v[74:75], -v[7:8]
	s_wait_dscnt 0x0
	v_add_f64_e32 v[72:73], v[68:69], v[9:10]
	v_add_f64_e32 v[74:75], v[70:71], v[11:12]
	v_add_f64_e64 v[68:69], v[68:69], -v[9:10]
	v_add_f64_e64 v[70:71], v[70:71], -v[11:12]
	v_add_f64_e32 v[5:6], v[13:14], v[5:6]
	v_add_f64_e32 v[7:8], v[15:16], v[7:8]
	v_mul_f64_e32 v[142:143], s[36:37], v[84:85]
	v_mul_f64_e32 v[140:141], s[36:37], v[86:87]
	;; [unrolled: 1-line block ×8, first 2 shown]
	v_add_f64_e32 v[13:14], v[5:6], v[9:10]
	v_add_f64_e32 v[15:16], v[7:8], v[11:12]
	ds_load_b128 v[5:8], v19 offset:6240
	ds_load_b128 v[9:12], v19 offset:6864
	scratch_store_b32 off, v28, off         ; 4-byte Folded Spill
	s_wait_dscnt 0x1
	v_add_f64_e32 v[17:18], v[64:65], v[5:6]
	v_add_f64_e32 v[20:21], v[66:67], v[7:8]
	v_add_f64_e64 v[22:23], v[64:65], -v[5:6]
	v_add_f64_e64 v[24:25], v[66:67], -v[7:8]
	s_wait_dscnt 0x0
	v_add_f64_e64 v[26:27], v[60:61], -v[9:10]
	v_add_f64_e64 v[108:109], v[62:63], -v[11:12]
	v_add_f64_e32 v[60:61], v[60:61], v[9:10]
	v_add_f64_e32 v[62:63], v[62:63], v[11:12]
	;; [unrolled: 1-line block ×4, first 2 shown]
	v_mul_f64_e32 v[134:135], s[16:17], v[22:23]
	v_mul_f64_e32 v[132:133], s[16:17], v[24:25]
	;; [unrolled: 1-line block ×8, first 2 shown]
	s_mov_b32 s39, 0x3fcea1e5
	s_mov_b32 s38, s16
	;; [unrolled: 1-line block ×3, first 2 shown]
	s_wait_alu 0xfffe
	v_mul_f64_e32 v[180:181], s[38:39], v[86:87]
	v_mul_f64_e32 v[182:183], s[38:39], v[84:85]
	s_mov_b32 s40, s28
	v_mul_f64_e32 v[188:189], s[36:37], v[26:27]
	v_add_f64_e32 v[9:10], v[5:6], v[9:10]
	v_add_f64_e32 v[11:12], v[7:8], v[11:12]
	ds_load_b128 v[5:8], v19 offset:7488
	s_wait_alu 0xfffe
	v_mul_f64_e32 v[184:185], s[40:41], v[78:79]
	v_mul_f64_e32 v[186:187], s[40:41], v[76:77]
	;; [unrolled: 1-line block ×5, first 2 shown]
	global_wb scope:SCOPE_SE
	s_wait_storecnt_dscnt 0x0
	s_barrier_signal -1
	s_barrier_wait -1
	global_inv scope:SCOPE_SE
	v_add_f64_e64 v[13:14], v[58:59], -v[7:8]
	v_add_f64_e64 v[15:16], v[56:57], -v[5:6]
	v_add_f64_e32 v[56:57], v[56:57], v[5:6]
	v_add_f64_e32 v[58:59], v[58:59], v[7:8]
	;; [unrolled: 1-line block ×4, first 2 shown]
	v_mul_f64_e32 v[9:10], s[34:35], v[13:14]
	v_mul_f64_e32 v[11:12], s[28:29], v[13:14]
	v_mul_f64_e32 v[64:65], s[26:27], v[13:14]
	v_mul_f64_e32 v[66:67], s[24:25], v[13:14]
	v_mul_f64_e32 v[88:89], s[22:23], v[13:14]
	v_mul_f64_e32 v[13:14], s[16:17], v[13:14]
	v_mul_f64_e32 v[110:111], s[22:23], v[15:16]
	v_mul_f64_e32 v[102:103], s[28:29], v[15:16]
	v_mul_f64_e32 v[104:105], s[26:27], v[15:16]
	v_mul_f64_e32 v[106:107], s[24:25], v[15:16]
	v_fma_f64 v[90:91], v[56:57], s[30:31], -v[9:10]
	v_fma_f64 v[9:10], v[56:57], s[30:31], v[9:10]
	v_fma_f64 v[92:93], v[56:57], s[20:21], -v[11:12]
	v_fma_f64 v[11:12], v[56:57], s[20:21], v[11:12]
	;; [unrolled: 2-line block ×6, first 2 shown]
	v_mul_f64_e32 v[56:57], s[34:35], v[15:16]
	v_mul_f64_e32 v[15:16], s[16:17], v[15:16]
	v_fma_f64 v[120:121], v[58:59], s[12:13], v[110:111]
	v_fma_f64 v[114:115], v[58:59], s[20:21], v[102:103]
	v_fma_f64 v[102:103], v[58:59], s[20:21], -v[102:103]
	v_fma_f64 v[116:117], v[58:59], s[18:19], v[104:105]
	v_fma_f64 v[104:105], v[58:59], s[18:19], -v[104:105]
	;; [unrolled: 2-line block ×3, first 2 shown]
	v_fma_f64 v[110:111], v[58:59], s[12:13], -v[110:111]
	s_mov_b32 s35, 0x3fddbe06
	s_wait_alu 0xfffe
	v_mul_f64_e32 v[144:145], s[34:35], v[78:79]
	v_mul_f64_e32 v[146:147], s[34:35], v[76:77]
	;; [unrolled: 1-line block ×8, first 2 shown]
	v_add_f64_e32 v[124:125], v[52:53], v[90:91]
	v_add_f64_e32 v[126:127], v[52:53], v[9:10]
	;; [unrolled: 1-line block ×3, first 2 shown]
	v_fma_f64 v[112:113], v[58:59], s[30:31], v[56:57]
	v_fma_f64 v[56:57], v[58:59], s[30:31], -v[56:57]
	v_fma_f64 v[122:123], v[58:59], s[2:3], v[15:16]
	v_fma_f64 v[15:16], v[58:59], s[2:3], -v[15:16]
	v_add_f64_e32 v[58:59], v[52:53], v[94:95]
	v_add_f64_e32 v[94:95], v[54:55], v[120:121]
	v_mul_f64_e32 v[120:121], s[24:25], v[108:109]
	v_add_f64_e32 v[130:131], v[54:55], v[102:103]
	v_add_f64_e32 v[102:103], v[52:53], v[64:65]
	;; [unrolled: 1-line block ×9, first 2 shown]
	v_fma_f64 v[13:14], v[17:18], s[2:3], -v[132:133]
	v_add_f64_e32 v[92:93], v[54:55], v[118:119]
	v_add_f64_e32 v[104:105], v[54:55], v[104:105]
	;; [unrolled: 1-line block ×9, first 2 shown]
	v_mul_f64_e32 v[122:123], s[24:25], v[26:27]
	v_fma_f64 v[11:12], v[60:61], s[14:15], -v[120:121]
	v_add_f64_e32 v[118:119], v[54:55], v[15:16]
	v_fma_f64 v[15:16], v[62:63], s[2:3], v[150:151]
	v_fma_f64 v[52:53], v[17:18], s[14:15], -v[152:153]
	v_fma_f64 v[54:55], v[62:63], s[12:13], v[170:171]
	v_add_f64_e32 v[9:10], v[11:12], v[9:10]
	v_fma_f64 v[11:12], v[62:63], s[14:15], v[122:123]
	v_add_f64_e32 v[15:16], v[15:16], v[90:91]
	v_mul_f64_e32 v[90:91], s[34:35], v[108:109]
	v_add_f64_e32 v[54:55], v[54:55], v[92:93]
	v_mul_f64_e32 v[92:93], s[36:37], v[108:109]
	v_mul_f64_e32 v[108:109], s[28:29], v[108:109]
	v_add_f64_e32 v[9:10], v[13:14], v[9:10]
	v_add_f64_e32 v[11:12], v[11:12], v[56:57]
	v_fma_f64 v[13:14], v[20:21], s[2:3], v[134:135]
	v_fma_f64 v[56:57], v[17:18], s[30:31], -v[172:173]
	s_delay_alu instid0(VALU_DEP_2) | instskip(SKIP_1) | instid1(VALU_DEP_1)
	v_add_f64_e32 v[11:12], v[13:14], v[11:12]
	v_fma_f64 v[13:14], v[72:73], s[12:13], -v[136:137]
	v_add_f64_e32 v[9:10], v[13:14], v[9:10]
	v_fma_f64 v[13:14], v[74:75], s[12:13], v[138:139]
	s_delay_alu instid0(VALU_DEP_1) | instskip(SKIP_1) | instid1(VALU_DEP_1)
	v_add_f64_e32 v[11:12], v[13:14], v[11:12]
	v_fma_f64 v[13:14], v[80:81], s[18:19], -v[140:141]
	v_add_f64_e32 v[9:10], v[13:14], v[9:10]
	v_fma_f64 v[13:14], v[82:83], s[18:19], v[142:143]
	s_delay_alu instid0(VALU_DEP_1) | instskip(SKIP_1) | instid1(VALU_DEP_1)
	;; [unrolled: 5-line block ×3, first 2 shown]
	v_add_f64_e32 v[11:12], v[13:14], v[11:12]
	v_fma_f64 v[13:14], v[60:61], s[2:3], -v[148:149]
	v_add_f64_e32 v[13:14], v[13:14], v[58:59]
	v_fma_f64 v[58:59], v[62:63], s[18:19], v[188:189]
	s_delay_alu instid0(VALU_DEP_2) | instskip(SKIP_1) | instid1(VALU_DEP_3)
	v_add_f64_e32 v[13:14], v[52:53], v[13:14]
	v_fma_f64 v[52:53], v[20:21], s[14:15], v[154:155]
	v_add_f64_e32 v[58:59], v[58:59], v[94:95]
	v_mul_f64_e32 v[94:95], s[28:29], v[24:25]
	s_delay_alu instid0(VALU_DEP_3) | instskip(SKIP_1) | instid1(VALU_DEP_1)
	v_add_f64_e32 v[15:16], v[52:53], v[15:16]
	v_fma_f64 v[52:53], v[72:73], s[30:31], -v[156:157]
	v_add_f64_e32 v[13:14], v[52:53], v[13:14]
	v_fma_f64 v[52:53], v[74:75], s[30:31], v[158:159]
	s_delay_alu instid0(VALU_DEP_1) | instskip(SKIP_1) | instid1(VALU_DEP_1)
	v_add_f64_e32 v[15:16], v[52:53], v[15:16]
	v_fma_f64 v[52:53], v[80:81], s[20:21], -v[160:161]
	v_add_f64_e32 v[13:14], v[52:53], v[13:14]
	v_fma_f64 v[52:53], v[82:83], s[20:21], v[162:163]
	s_delay_alu instid0(VALU_DEP_1) | instskip(SKIP_1) | instid1(VALU_DEP_1)
	;; [unrolled: 5-line block ×3, first 2 shown]
	v_add_f64_e32 v[15:16], v[52:53], v[15:16]
	v_fma_f64 v[52:53], v[60:61], s[12:13], -v[168:169]
	v_add_f64_e32 v[52:53], v[52:53], v[64:65]
	v_fma_f64 v[64:65], v[17:18], s[20:21], -v[94:95]
	v_fma_f64 v[94:95], v[17:18], s[20:21], v[94:95]
	s_delay_alu instid0(VALU_DEP_3) | instskip(SKIP_1) | instid1(VALU_DEP_1)
	v_add_f64_e32 v[52:53], v[56:57], v[52:53]
	v_fma_f64 v[56:57], v[20:21], s[30:31], v[174:175]
	v_add_f64_e32 v[54:55], v[56:57], v[54:55]
	v_fma_f64 v[56:57], v[72:73], s[18:19], -v[176:177]
	s_delay_alu instid0(VALU_DEP_1) | instskip(SKIP_1) | instid1(VALU_DEP_1)
	v_add_f64_e32 v[52:53], v[56:57], v[52:53]
	v_fma_f64 v[56:57], v[74:75], s[18:19], v[178:179]
	v_add_f64_e32 v[54:55], v[56:57], v[54:55]
	v_fma_f64 v[56:57], v[80:81], s[2:3], -v[180:181]
	s_delay_alu instid0(VALU_DEP_1) | instskip(SKIP_1) | instid1(VALU_DEP_1)
	v_add_f64_e32 v[52:53], v[56:57], v[52:53]
	v_fma_f64 v[56:57], v[82:83], s[2:3], v[182:183]
	v_add_f64_e32 v[54:55], v[56:57], v[54:55]
	v_fma_f64 v[56:57], v[0:1], s[20:21], -v[184:185]
	s_delay_alu instid0(VALU_DEP_1) | instskip(SKIP_1) | instid1(VALU_DEP_1)
	v_add_f64_e32 v[52:53], v[56:57], v[52:53]
	v_fma_f64 v[56:57], v[2:3], s[20:21], v[186:187]
	v_add_f64_e32 v[54:55], v[56:57], v[54:55]
	v_fma_f64 v[56:57], v[60:61], s[18:19], -v[92:93]
	v_fma_f64 v[92:93], v[60:61], s[18:19], v[92:93]
	s_delay_alu instid0(VALU_DEP_2) | instskip(NEXT) | instid1(VALU_DEP_2)
	v_add_f64_e32 v[56:57], v[56:57], v[66:67]
	v_add_f64_e32 v[92:93], v[92:93], v[98:99]
	v_fma_f64 v[98:99], v[62:63], s[18:19], -v[188:189]
	s_delay_alu instid0(VALU_DEP_3) | instskip(SKIP_1) | instid1(VALU_DEP_3)
	v_add_f64_e32 v[56:57], v[64:65], v[56:57]
	v_fma_f64 v[64:65], v[20:21], s[20:21], v[190:191]
	v_add_f64_e32 v[98:99], v[98:99], v[110:111]
	v_add_f64_e32 v[92:93], v[94:95], v[92:93]
	v_fma_f64 v[94:95], v[20:21], s[20:21], -v[190:191]
	v_fma_f64 v[110:111], v[17:18], s[2:3], v[132:133]
	v_add_f64_e32 v[58:59], v[64:65], v[58:59]
	v_fma_f64 v[64:65], v[72:73], s[2:3], -v[192:193]
	s_delay_alu instid0(VALU_DEP_4) | instskip(SKIP_1) | instid1(VALU_DEP_3)
	v_add_f64_e32 v[94:95], v[94:95], v[98:99]
	v_fma_f64 v[98:99], v[72:73], s[2:3], v[192:193]
	v_add_f64_e32 v[56:57], v[64:65], v[56:57]
	v_fma_f64 v[64:65], v[74:75], s[2:3], v[194:195]
	s_delay_alu instid0(VALU_DEP_3) | instskip(SKIP_1) | instid1(VALU_DEP_3)
	v_add_f64_e32 v[92:93], v[98:99], v[92:93]
	v_fma_f64 v[98:99], v[74:75], s[2:3], -v[194:195]
	v_add_f64_e32 v[58:59], v[64:65], v[58:59]
	v_fma_f64 v[64:65], v[80:81], s[30:31], -v[196:197]
	s_delay_alu instid0(VALU_DEP_3) | instskip(SKIP_1) | instid1(VALU_DEP_3)
	v_add_f64_e32 v[94:95], v[98:99], v[94:95]
	v_fma_f64 v[98:99], v[80:81], s[30:31], v[196:197]
	v_add_f64_e32 v[56:57], v[64:65], v[56:57]
	v_fma_f64 v[64:65], v[82:83], s[30:31], v[198:199]
	s_delay_alu instid0(VALU_DEP_3) | instskip(SKIP_1) | instid1(VALU_DEP_3)
	v_add_f64_e32 v[92:93], v[98:99], v[92:93]
	v_fma_f64 v[98:99], v[82:83], s[30:31], -v[198:199]
	v_add_f64_e32 v[58:59], v[64:65], v[58:59]
	v_fma_f64 v[64:65], v[0:1], s[14:15], -v[201:202]
	s_delay_alu instid0(VALU_DEP_3) | instskip(SKIP_1) | instid1(VALU_DEP_3)
	v_add_f64_e32 v[94:95], v[98:99], v[94:95]
	v_fma_f64 v[98:99], v[0:1], s[14:15], v[201:202]
	v_add_f64_e32 v[56:57], v[64:65], v[56:57]
	v_fma_f64 v[64:65], v[2:3], s[14:15], v[203:204]
	s_delay_alu instid0(VALU_DEP_3) | instskip(SKIP_1) | instid1(VALU_DEP_3)
	v_add_f64_e32 v[92:93], v[98:99], v[92:93]
	v_fma_f64 v[98:99], v[60:61], s[12:13], v[168:169]
	v_add_f64_e32 v[58:59], v[64:65], v[58:59]
	v_fma_f64 v[64:65], v[60:61], s[30:31], -v[90:91]
	v_fma_f64 v[90:91], v[60:61], s[30:31], v[90:91]
	s_delay_alu instid0(VALU_DEP_4) | instskip(SKIP_1) | instid1(VALU_DEP_4)
	v_add_f64_e32 v[96:97], v[98:99], v[96:97]
	v_fma_f64 v[98:99], v[62:63], s[12:13], -v[170:171]
	v_add_f64_e32 v[64:65], v[64:65], v[88:89]
	v_mul_f64_e32 v[88:89], s[34:35], v[26:27]
	v_add_f64_e32 v[90:91], v[90:91], v[116:117]
	s_delay_alu instid0(VALU_DEP_4) | instskip(SKIP_4) | instid1(VALU_DEP_2)
	v_add_f64_e32 v[98:99], v[98:99], v[106:107]
	v_fma_f64 v[106:107], v[2:3], s[20:21], -v[186:187]
	v_mul_f64_e32 v[26:27], s[28:29], v[26:27]
	v_fma_f64 v[66:67], v[62:63], s[30:31], v[88:89]
	v_fma_f64 v[88:89], v[62:63], s[30:31], -v[88:89]
	v_add_f64_e32 v[66:67], v[66:67], v[100:101]
	v_mul_f64_e32 v[100:101], s[22:23], v[24:25]
	s_delay_alu instid0(VALU_DEP_3) | instskip(SKIP_1) | instid1(VALU_DEP_3)
	v_add_f64_e32 v[88:89], v[88:89], v[118:119]
	v_mul_f64_e32 v[24:25], s[26:27], v[24:25]
	v_fma_f64 v[205:206], v[17:18], s[12:13], -v[100:101]
	v_fma_f64 v[100:101], v[17:18], s[12:13], v[100:101]
	s_delay_alu instid0(VALU_DEP_2) | instskip(SKIP_1) | instid1(VALU_DEP_3)
	v_add_f64_e32 v[64:65], v[205:206], v[64:65]
	v_mul_f64_e32 v[205:206], s[22:23], v[22:23]
	v_add_f64_e32 v[90:91], v[100:101], v[90:91]
	v_mul_f64_e32 v[22:23], s[26:27], v[22:23]
	s_delay_alu instid0(VALU_DEP_3) | instskip(SKIP_1) | instid1(VALU_DEP_2)
	v_fma_f64 v[207:208], v[20:21], s[12:13], v[205:206]
	v_fma_f64 v[100:101], v[20:21], s[12:13], -v[205:206]
	v_add_f64_e32 v[66:67], v[207:208], v[66:67]
	v_mul_f64_e32 v[207:208], s[40:41], v[70:71]
	s_delay_alu instid0(VALU_DEP_3) | instskip(NEXT) | instid1(VALU_DEP_2)
	v_add_f64_e32 v[88:89], v[100:101], v[88:89]
	v_fma_f64 v[209:210], v[72:73], s[20:21], -v[207:208]
	v_fma_f64 v[100:101], v[72:73], s[20:21], v[207:208]
	s_delay_alu instid0(VALU_DEP_2) | instskip(SKIP_1) | instid1(VALU_DEP_3)
	v_add_f64_e32 v[64:65], v[209:210], v[64:65]
	v_mul_f64_e32 v[209:210], s[40:41], v[68:69]
	v_add_f64_e32 v[90:91], v[100:101], v[90:91]
	s_delay_alu instid0(VALU_DEP_2) | instskip(SKIP_1) | instid1(VALU_DEP_2)
	v_fma_f64 v[211:212], v[74:75], s[20:21], v[209:210]
	v_fma_f64 v[100:101], v[74:75], s[20:21], -v[209:210]
	v_add_f64_e32 v[66:67], v[211:212], v[66:67]
	v_mul_f64_e32 v[211:212], s[24:25], v[86:87]
	s_delay_alu instid0(VALU_DEP_3) | instskip(SKIP_1) | instid1(VALU_DEP_3)
	v_add_f64_e32 v[88:89], v[100:101], v[88:89]
	v_mul_f64_e32 v[86:87], s[22:23], v[86:87]
	v_fma_f64 v[213:214], v[80:81], s[14:15], -v[211:212]
	v_fma_f64 v[100:101], v[80:81], s[14:15], v[211:212]
	s_delay_alu instid0(VALU_DEP_2) | instskip(SKIP_1) | instid1(VALU_DEP_3)
	v_add_f64_e32 v[64:65], v[213:214], v[64:65]
	v_mul_f64_e32 v[213:214], s[24:25], v[84:85]
	v_add_f64_e32 v[90:91], v[100:101], v[90:91]
	v_mul_f64_e32 v[84:85], s[22:23], v[84:85]
	s_delay_alu instid0(VALU_DEP_3) | instskip(SKIP_1) | instid1(VALU_DEP_2)
	v_fma_f64 v[215:216], v[82:83], s[14:15], v[213:214]
	v_fma_f64 v[100:101], v[82:83], s[14:15], -v[213:214]
	v_add_f64_e32 v[66:67], v[215:216], v[66:67]
	v_mul_f64_e32 v[215:216], s[36:37], v[78:79]
	s_delay_alu instid0(VALU_DEP_3) | instskip(SKIP_1) | instid1(VALU_DEP_3)
	v_add_f64_e32 v[100:101], v[100:101], v[88:89]
	v_mul_f64_e32 v[78:79], s[16:17], v[78:79]
	v_fma_f64 v[217:218], v[0:1], s[18:19], -v[215:216]
	v_fma_f64 v[88:89], v[0:1], s[18:19], v[215:216]
	s_delay_alu instid0(VALU_DEP_2) | instskip(SKIP_1) | instid1(VALU_DEP_3)
	v_add_f64_e32 v[64:65], v[217:218], v[64:65]
	v_mul_f64_e32 v[217:218], s[36:37], v[76:77]
	v_add_f64_e32 v[88:89], v[88:89], v[90:91]
	v_mul_f64_e32 v[76:77], s[16:17], v[76:77]
	s_delay_alu instid0(VALU_DEP_3) | instskip(SKIP_1) | instid1(VALU_DEP_2)
	v_fma_f64 v[116:117], v[2:3], s[18:19], -v[217:218]
	v_fma_f64 v[219:220], v[2:3], s[18:19], v[217:218]
	v_add_f64_e32 v[90:91], v[116:117], v[100:101]
	v_fma_f64 v[100:101], v[2:3], s[14:15], -v[203:204]
	s_delay_alu instid0(VALU_DEP_3) | instskip(NEXT) | instid1(VALU_DEP_2)
	v_add_f64_e32 v[66:67], v[219:220], v[66:67]
	v_add_f64_e32 v[94:95], v[100:101], v[94:95]
	v_fma_f64 v[100:101], v[17:18], s[30:31], v[172:173]
	s_delay_alu instid0(VALU_DEP_1) | instskip(SKIP_1) | instid1(VALU_DEP_1)
	v_add_f64_e32 v[96:97], v[100:101], v[96:97]
	v_fma_f64 v[100:101], v[20:21], s[30:31], -v[174:175]
	v_add_f64_e32 v[98:99], v[100:101], v[98:99]
	v_fma_f64 v[100:101], v[72:73], s[18:19], v[176:177]
	s_delay_alu instid0(VALU_DEP_1) | instskip(SKIP_1) | instid1(VALU_DEP_1)
	v_add_f64_e32 v[96:97], v[100:101], v[96:97]
	v_fma_f64 v[100:101], v[74:75], s[18:19], -v[178:179]
	;; [unrolled: 5-line block ×3, first 2 shown]
	v_add_f64_e32 v[98:99], v[100:101], v[98:99]
	v_fma_f64 v[100:101], v[0:1], s[20:21], v[184:185]
	s_delay_alu instid0(VALU_DEP_2) | instskip(NEXT) | instid1(VALU_DEP_2)
	v_add_f64_e32 v[98:99], v[106:107], v[98:99]
	v_add_f64_e32 v[96:97], v[100:101], v[96:97]
	v_fma_f64 v[100:101], v[60:61], s[2:3], v[148:149]
	v_fma_f64 v[106:107], v[2:3], s[12:13], -v[166:167]
                                        ; implicit-def: $vgpr148_vgpr149
	s_delay_alu instid0(VALU_DEP_2) | instskip(SKIP_1) | instid1(VALU_DEP_1)
	v_add_f64_e32 v[100:101], v[100:101], v[102:103]
	v_fma_f64 v[102:103], v[62:63], s[2:3], -v[150:151]
	v_add_f64_e32 v[102:103], v[102:103], v[104:105]
	v_fma_f64 v[104:105], v[17:18], s[14:15], v[152:153]
	s_delay_alu instid0(VALU_DEP_1) | instskip(SKIP_1) | instid1(VALU_DEP_1)
	v_add_f64_e32 v[100:101], v[104:105], v[100:101]
	v_fma_f64 v[104:105], v[20:21], s[14:15], -v[154:155]
	v_add_f64_e32 v[102:103], v[104:105], v[102:103]
	v_fma_f64 v[104:105], v[72:73], s[30:31], v[156:157]
	s_delay_alu instid0(VALU_DEP_1) | instskip(SKIP_1) | instid1(VALU_DEP_1)
	;; [unrolled: 5-line block ×3, first 2 shown]
	v_add_f64_e32 v[100:101], v[104:105], v[100:101]
	v_fma_f64 v[104:105], v[82:83], s[20:21], -v[162:163]
	v_add_f64_e32 v[102:103], v[104:105], v[102:103]
	v_fma_f64 v[104:105], v[0:1], s[12:13], v[164:165]
	s_delay_alu instid0(VALU_DEP_2) | instskip(NEXT) | instid1(VALU_DEP_2)
	v_add_f64_e32 v[102:103], v[106:107], v[102:103]
	v_add_f64_e32 v[100:101], v[104:105], v[100:101]
	v_fma_f64 v[104:105], v[60:61], s[14:15], v[120:121]
	v_fma_f64 v[106:107], v[62:63], s[14:15], -v[122:123]
	s_delay_alu instid0(VALU_DEP_2) | instskip(NEXT) | instid1(VALU_DEP_2)
	v_add_f64_e32 v[104:105], v[104:105], v[114:115]
	v_add_f64_e32 v[106:107], v[106:107], v[130:131]
	v_fma_f64 v[114:115], v[2:3], s[30:31], -v[146:147]
	s_delay_alu instid0(VALU_DEP_3) | instskip(SKIP_1) | instid1(VALU_DEP_1)
	v_add_f64_e32 v[104:105], v[110:111], v[104:105]
	v_fma_f64 v[110:111], v[20:21], s[2:3], -v[134:135]
	v_add_f64_e32 v[106:107], v[110:111], v[106:107]
	v_fma_f64 v[110:111], v[72:73], s[12:13], v[136:137]
	s_delay_alu instid0(VALU_DEP_1) | instskip(SKIP_1) | instid1(VALU_DEP_1)
	v_add_f64_e32 v[104:105], v[110:111], v[104:105]
	v_fma_f64 v[110:111], v[74:75], s[12:13], -v[138:139]
	v_add_f64_e32 v[106:107], v[110:111], v[106:107]
	v_fma_f64 v[110:111], v[80:81], s[18:19], v[140:141]
	s_delay_alu instid0(VALU_DEP_1) | instskip(SKIP_1) | instid1(VALU_DEP_1)
	v_add_f64_e32 v[104:105], v[110:111], v[104:105]
	v_fma_f64 v[110:111], v[82:83], s[18:19], -v[142:143]
	v_add_f64_e32 v[106:107], v[110:111], v[106:107]
	v_fma_f64 v[110:111], v[0:1], s[30:31], v[144:145]
                                        ; implicit-def: $vgpr144_vgpr145
	s_delay_alu instid0(VALU_DEP_2) | instskip(NEXT) | instid1(VALU_DEP_2)
	v_add_f64_e32 v[106:107], v[114:115], v[106:107]
	v_add_f64_e32 v[104:105], v[110:111], v[104:105]
	v_fma_f64 v[110:111], v[60:61], s[20:21], -v[108:109]
	v_fma_f64 v[114:115], v[62:63], s[20:21], v[26:27]
	v_fma_f64 v[60:61], v[60:61], s[20:21], v[108:109]
	v_fma_f64 v[26:27], v[62:63], s[20:21], -v[26:27]
	s_delay_alu instid0(VALU_DEP_4) | instskip(NEXT) | instid1(VALU_DEP_4)
	v_add_f64_e32 v[110:111], v[110:111], v[124:125]
	v_add_f64_e32 v[112:113], v[114:115], v[112:113]
	v_fma_f64 v[114:115], v[17:18], s[18:19], -v[24:25]
	v_fma_f64 v[17:18], v[17:18], s[18:19], v[24:25]
	v_add_f64_e32 v[24:25], v[26:27], v[128:129]
	s_delay_alu instid0(VALU_DEP_3) | instskip(SKIP_3) | instid1(VALU_DEP_3)
	v_add_f64_e32 v[110:111], v[114:115], v[110:111]
	v_fma_f64 v[114:115], v[20:21], s[18:19], v[22:23]
	v_fma_f64 v[20:21], v[20:21], s[18:19], -v[22:23]
	v_add_f64_e32 v[22:23], v[60:61], v[126:127]
	v_add_f64_e32 v[112:113], v[114:115], v[112:113]
	v_mul_f64_e32 v[114:115], s[24:25], v[70:71]
	s_delay_alu instid0(VALU_DEP_3)
	v_add_f64_e32 v[17:18], v[17:18], v[22:23]
	v_add_f64_e32 v[20:21], v[20:21], v[24:25]
	v_fma_f64 v[22:23], v[80:81], s[12:13], v[86:87]
	v_fma_f64 v[24:25], v[82:83], s[12:13], -v[84:85]
	v_fma_f64 v[70:71], v[72:73], s[14:15], -v[114:115]
	v_fma_f64 v[26:27], v[72:73], s[14:15], v[114:115]
	s_delay_alu instid0(VALU_DEP_2) | instskip(SKIP_1) | instid1(VALU_DEP_3)
	v_add_f64_e32 v[70:71], v[70:71], v[110:111]
	v_mul_f64_e32 v[110:111], s[24:25], v[68:69]
	v_add_f64_e32 v[17:18], v[26:27], v[17:18]
	s_delay_alu instid0(VALU_DEP_2) | instskip(SKIP_1) | instid1(VALU_DEP_3)
	v_fma_f64 v[68:69], v[74:75], s[14:15], v[110:111]
	v_fma_f64 v[60:61], v[74:75], s[14:15], -v[110:111]
	v_add_f64_e32 v[17:18], v[22:23], v[17:18]
	s_delay_alu instid0(VALU_DEP_3) | instskip(SKIP_1) | instid1(VALU_DEP_4)
	v_add_f64_e32 v[68:69], v[68:69], v[112:113]
	v_fma_f64 v[112:113], v[80:81], s[12:13], -v[86:87]
	v_add_f64_e32 v[20:21], v[60:61], v[20:21]
	s_delay_alu instid0(VALU_DEP_2) | instskip(SKIP_1) | instid1(VALU_DEP_3)
	v_add_f64_e32 v[70:71], v[112:113], v[70:71]
	v_fma_f64 v[112:113], v[82:83], s[12:13], v[84:85]
	v_add_f64_e32 v[20:21], v[24:25], v[20:21]
	s_delay_alu instid0(VALU_DEP_2) | instskip(SKIP_2) | instid1(VALU_DEP_2)
	v_add_f64_e32 v[112:113], v[112:113], v[68:69]
	v_fma_f64 v[68:69], v[0:1], s[2:3], -v[78:79]
	v_fma_f64 v[0:1], v[0:1], s[2:3], v[78:79]
	v_add_f64_e32 v[68:69], v[68:69], v[70:71]
	v_fma_f64 v[70:71], v[2:3], s[2:3], v[76:77]
	v_fma_f64 v[2:3], v[2:3], s[2:3], -v[76:77]
	s_delay_alu instid0(VALU_DEP_4) | instskip(SKIP_4) | instid1(VALU_DEP_3)
	v_add_f64_e32 v[60:61], v[0:1], v[17:18]
	v_mul_lo_u16 v0, v4, 13
	v_add_co_u32 v156, s2, s8, v255
	s_wait_alu 0xf1ff
	v_add_co_ci_u32_e64 v157, null, s9, 0, s2
	v_and_b32_e32 v0, 0xffff, v0
	s_delay_alu instid0(VALU_DEP_1)
	v_lshl_add_u32 v18, v0, 4, v28
	v_add_f64_e32 v[70:71], v[70:71], v[112:113]
	v_add_f64_e32 v[62:63], v[2:3], v[20:21]
	ds_store_b128 v18, v[9:12] offset:32
	ds_store_b128 v18, v[13:16] offset:48
	;; [unrolled: 1-line block ×11, first 2 shown]
	ds_store_b128 v18, v[5:8]
	ds_store_b128 v18, v[60:63] offset:192
	global_wb scope:SCOPE_SE
	s_wait_dscnt 0x0
	s_barrier_signal -1
	s_barrier_wait -1
	global_inv scope:SCOPE_SE
	ds_load_b128 v[108:111], v19
	ds_load_b128 v[68:71], v19 offset:624
	ds_load_b128 v[136:139], v19 offset:2704
	ds_load_b128 v[120:123], v19 offset:3328
	ds_load_b128 v[140:143], v19 offset:5408
	ds_load_b128 v[124:127], v19 offset:6032
	ds_load_b128 v[72:75], v19 offset:1248
	ds_load_b128 v[64:67], v19 offset:1872
	ds_load_b128 v[128:131], v19 offset:3952
	ds_load_b128 v[112:115], v19 offset:4576
	ds_load_b128 v[132:135], v19 offset:6656
	ds_load_b128 v[116:119], v19 offset:7280
	s_and_saveexec_b32 s2, vcc_lo
	s_cbranch_execz .LBB0_3
; %bb.2:
	ds_load_b128 v[60:63], v19 offset:2496
	ds_load_b128 v[144:147], v19 offset:5200
	;; [unrolled: 1-line block ×3, first 2 shown]
.LBB0_3:
	s_wait_alu 0xfffe
	s_or_b32 exec_lo, exec_lo, s2
	v_add_nc_u16 v0, v37, 39
	v_and_b32_e32 v1, 0xff, v37
	v_add_nc_u16 v2, v37, 0x4e
	v_add_nc_u16 v4, v37, 0x75
	;; [unrolled: 1-line block ×3, first 2 shown]
	v_and_b32_e32 v3, 0xff, v0
	v_mul_lo_u16 v1, 0x4f, v1
	v_and_b32_e32 v6, 0xff, v2
	s_mov_b32 s2, 0xe8584caa
	v_and_b32_e32 v7, 0xff, v5
	v_mul_lo_u16 v3, 0x4f, v3
	v_lshrrev_b16 v28, 10, v1
	v_and_b32_e32 v1, 0xff, v4
	v_mul_lo_u16 v6, 0x4f, v6
	v_mul_lo_u16 v7, 0x4f, v7
	v_lshrrev_b16 v29, 10, v3
	v_mul_lo_u16 v3, v28, 13
	v_mul_lo_u16 v1, 0x4f, v1
	v_lshrrev_b16 v30, 10, v6
	s_mov_b32 s3, 0x3febb67a
	v_mul_lo_u16 v6, v29, 13
	v_sub_nc_u16 v3, v37, v3
	v_lshrrev_b16 v31, 10, v1
	v_lshrrev_b16 v1, 10, v7
	v_mul_lo_u16 v7, v30, 13
	v_sub_nc_u16 v0, v0, v6
	v_and_b32_e32 v32, 0xff, v3
	v_mul_lo_u16 v3, v31, 13
	v_mul_lo_u16 v1, v1, 13
	v_sub_nc_u16 v2, v2, v7
	v_and_b32_e32 v33, 0xff, v0
	v_lshlrev_b32_e32 v0, 5, v32
	v_sub_nc_u16 v3, v4, v3
	v_sub_nc_u16 v34, v5, v1
	v_and_b32_e32 v35, 0xff, v2
	s_clause 0x1
	global_load_b128 v[76:79], v0, s[10:11] offset:16
	global_load_b128 v[88:91], v0, s[10:11]
	v_lshlrev_b32_e32 v1, 5, v33
	v_lshlrev_b16 v0, 1, v34
	v_and_b32_e32 v36, 0xff, v3
	v_lshlrev_b32_e32 v2, 5, v35
	s_clause 0x1
	global_load_b128 v[96:99], v1, s[10:11]
	global_load_b128 v[92:95], v1, s[10:11] offset:16
	v_and_b32_e32 v0, 0xfe, v0
	v_lshlrev_b32_e32 v1, 5, v36
	s_clause 0x1
	global_load_b128 v[104:107], v2, s[10:11]
	global_load_b128 v[100:103], v2, s[10:11] offset:16
	s_mov_b32 s13, 0xbfebb67a
	s_wait_alu 0xfffe
	s_mov_b32 s12, s2
	v_lshlrev_b32_e32 v0, 4, v0
	s_clause 0x3
	global_load_b128 v[84:87], v1, s[10:11]
	global_load_b128 v[80:83], v1, s[10:11] offset:16
	global_load_b128 v[56:59], v0, s[10:11]
	global_load_b128 v[52:55], v0, s[10:11] offset:16
	s_wait_loadcnt_dscnt 0x907
	v_mul_f64_e32 v[2:3], v[142:143], v[78:79]
	s_wait_loadcnt 0x8
	v_mul_f64_e32 v[0:1], v[138:139], v[90:91]
	v_mul_f64_e32 v[4:5], v[136:137], v[90:91]
	;; [unrolled: 1-line block ×3, first 2 shown]
	s_wait_loadcnt 0x7
	v_mul_f64_e32 v[8:9], v[122:123], v[98:99]
	s_wait_loadcnt_dscnt 0x606
	v_mul_f64_e32 v[10:11], v[126:127], v[94:95]
	v_mul_f64_e32 v[12:13], v[120:121], v[98:99]
	s_wait_loadcnt_dscnt 0x503
	v_mul_f64_e32 v[16:17], v[130:131], v[106:107]
	s_wait_loadcnt_dscnt 0x401
	v_mul_f64_e32 v[20:21], v[134:135], v[102:103]
	v_mul_f64_e32 v[22:23], v[128:129], v[106:107]
	v_mul_f64_e32 v[24:25], v[132:133], v[102:103]
	s_wait_loadcnt 0x3
	v_mul_f64_e32 v[26:27], v[114:115], v[86:87]
	v_mul_f64_e32 v[154:155], v[112:113], v[86:87]
	s_wait_loadcnt_dscnt 0x200
	v_mul_f64_e32 v[158:159], v[116:117], v[82:83]
	s_wait_loadcnt 0x0
	v_mul_f64_e32 v[162:163], v[150:151], v[54:55]
	v_mul_f64_e32 v[14:15], v[124:125], v[94:95]
	;; [unrolled: 1-line block ×6, first 2 shown]
	v_fma_f64 v[140:141], v[140:141], v[76:77], -v[2:3]
	v_fma_f64 v[136:137], v[136:137], v[88:89], -v[0:1]
	v_fma_f64 v[138:139], v[138:139], v[88:89], v[4:5]
	v_fma_f64 v[142:143], v[142:143], v[76:77], v[6:7]
	v_fma_f64 v[8:9], v[120:121], v[96:97], -v[8:9]
	v_fma_f64 v[120:121], v[124:125], v[92:93], -v[10:11]
	v_fma_f64 v[10:11], v[122:123], v[96:97], v[12:13]
	v_fma_f64 v[12:13], v[128:129], v[104:105], -v[16:17]
	v_fma_f64 v[16:17], v[132:133], v[100:101], -v[20:21]
	v_fma_f64 v[20:21], v[130:131], v[104:105], v[22:23]
	v_fma_f64 v[22:23], v[134:135], v[100:101], v[24:25]
	v_fma_f64 v[24:25], v[112:113], v[84:85], -v[26:27]
	v_fma_f64 v[112:113], v[114:115], v[84:85], v[154:155]
	v_fma_f64 v[114:115], v[118:119], v[80:81], v[158:159]
	v_fma_f64 v[0:1], v[148:149], v[52:53], -v[162:163]
	v_fma_f64 v[14:15], v[126:127], v[92:93], v[14:15]
	v_fma_f64 v[26:27], v[116:117], v[80:81], -v[152:153]
	v_fma_f64 v[2:3], v[144:145], v[56:57], -v[160:161]
	v_fma_f64 v[6:7], v[146:147], v[56:57], v[164:165]
	v_fma_f64 v[4:5], v[150:151], v[52:53], v[166:167]
	v_add_f64_e32 v[116:117], v[136:137], v[140:141]
	v_add_f64_e32 v[146:147], v[108:109], v[136:137]
	;; [unrolled: 1-line block ×3, first 2 shown]
	v_add_f64_e64 v[148:149], v[138:139], -v[142:143]
	v_add_f64_e32 v[138:139], v[110:111], v[138:139]
	v_add_f64_e64 v[136:137], v[136:137], -v[140:141]
	v_add_f64_e32 v[122:123], v[8:9], v[120:121]
	;; [unrolled: 2-line block ×3, first 2 shown]
	v_add_f64_e32 v[126:127], v[12:13], v[16:17]
	v_add_f64_e32 v[158:159], v[74:75], v[20:21]
	;; [unrolled: 1-line block ×3, first 2 shown]
	v_add_f64_e64 v[20:21], v[20:21], -v[22:23]
	v_add_f64_e32 v[162:163], v[66:67], v[112:113]
	v_add_f64_e32 v[132:133], v[112:113], v[114:115]
	;; [unrolled: 1-line block ×6, first 2 shown]
	v_add_f64_e64 v[164:165], v[10:11], -v[14:15]
	v_add_f64_e32 v[144:145], v[6:7], v[4:5]
	v_add_f64_e64 v[172:173], v[12:13], -v[16:17]
	v_add_f64_e64 v[112:113], v[112:113], -v[114:115]
	;; [unrolled: 1-line block ×5, first 2 shown]
	v_add_f64_e32 v[152:153], v[70:71], v[10:11]
	v_add_f64_e32 v[154:155], v[72:73], v[12:13]
	v_fma_f64 v[108:109], v[116:117], -0.5, v[108:109]
	v_add_f64_e32 v[8:9], v[146:147], v[140:141]
	v_fma_f64 v[110:111], v[118:119], -0.5, v[110:111]
	;; [unrolled: 2-line block ×4, first 2 shown]
	v_fma_f64 v[174:175], v[128:129], -0.5, v[74:75]
	v_fma_f64 v[178:179], v[132:133], -0.5, v[66:67]
	v_add_f64_e32 v[66:67], v[158:159], v[22:23]
	scratch_load_b32 v22, off, off          ; 4-byte Folded Reload
	v_fma_f64 v[168:169], v[124:125], -0.5, v[70:71]
	v_fma_f64 v[176:177], v[130:131], -0.5, v[64:65]
	;; [unrolled: 1-line block ×4, first 2 shown]
	v_add_f64_e32 v[70:71], v[162:163], v[114:115]
	v_add_f64_e32 v[68:69], v[160:161], v[26:27]
	global_wb scope:SCOPE_SE
	s_wait_loadcnt 0x0
	s_barrier_signal -1
	s_barrier_wait -1
	v_add_f64_e32 v[14:15], v[152:153], v[14:15]
	v_add_f64_e32 v[64:65], v[154:155], v[16:17]
	v_and_b32_e32 v16, 0xffff, v28
	v_and_b32_e32 v17, 0xffff, v29
	global_inv scope:SCOPE_SE
	v_mul_u32_u24_e32 v16, 39, v16
	v_mul_u32_u24_e32 v17, 39, v17
	s_delay_alu instid0(VALU_DEP_2)
	v_add_nc_u32_e32 v16, v16, v32
	v_fma_f64 v[72:73], v[148:149], s[2:3], v[108:109]
	s_wait_alu 0xfffe
	v_fma_f64 v[74:75], v[136:137], s[12:13], v[110:111]
	v_fma_f64 v[116:117], v[148:149], s[12:13], v[108:109]
	;; [unrolled: 1-line block ×3, first 2 shown]
	v_add_nc_u32_e32 v17, v17, v33
	v_fma_f64 v[124:125], v[164:165], s[12:13], v[122:123]
	v_fma_f64 v[120:121], v[164:165], s[2:3], v[122:123]
	;; [unrolled: 1-line block ×6, first 2 shown]
	v_and_b32_e32 v20, 0xffff, v30
	v_fma_f64 v[142:143], v[24:25], s[2:3], v[178:179]
	v_fma_f64 v[138:139], v[24:25], s[12:13], v[178:179]
	v_and_b32_e32 v21, 0xffff, v31
	v_fma_f64 v[126:127], v[166:167], s[2:3], v[168:169]
	v_fma_f64 v[136:137], v[112:113], s[2:3], v[176:177]
	;; [unrolled: 1-line block ×8, first 2 shown]
	v_mul_u32_u24_e32 v20, 39, v20
	v_mul_u32_u24_e32 v21, 39, v21
	s_delay_alu instid0(VALU_DEP_2) | instskip(NEXT) | instid1(VALU_DEP_2)
	v_add_nc_u32_e32 v20, v20, v35
	v_add_nc_u32_e32 v21, v21, v36
	v_lshl_add_u32 v24, v16, 4, v22
	v_lshl_add_u32 v23, v17, 4, v22
	s_delay_alu instid0(VALU_DEP_4) | instskip(NEXT) | instid1(VALU_DEP_4)
	v_lshl_add_u32 v17, v20, 4, v22
	v_lshl_add_u32 v16, v21, 4, v22
	ds_store_b128 v24, v[8:11]
	ds_store_b128 v24, v[72:75] offset:208
	v_and_b32_e32 v8, 0xff, v34
	scratch_store_b32 off, v24, off offset:184 ; 4-byte Folded Spill
	ds_store_b128 v24, v[116:119] offset:416
	ds_store_b128 v23, v[12:15]
	ds_store_b128 v23, v[120:123] offset:208
	scratch_store_b32 off, v23, off offset:180 ; 4-byte Folded Spill
	ds_store_b128 v23, v[124:127] offset:416
	ds_store_b128 v17, v[64:67]
	ds_store_b128 v17, v[128:131] offset:208
	s_clause 0x1
	scratch_store_b32 off, v8, off offset:168
	scratch_store_b32 off, v17, off offset:176
	ds_store_b128 v17, v[132:135] offset:416
	ds_store_b128 v16, v[68:71]
	ds_store_b128 v16, v[136:139] offset:208
	scratch_store_b32 off, v16, off offset:172 ; 4-byte Folded Spill
	ds_store_b128 v16, v[140:143] offset:416
	s_and_saveexec_b32 s2, vcc_lo
	s_cbranch_execz .LBB0_5
; %bb.4:
	v_add_f64_e32 v[6:7], v[62:63], v[6:7]
	v_add_f64_e32 v[8:9], v[60:61], v[2:3]
	s_delay_alu instid0(VALU_DEP_2)
	v_add_f64_e32 v[2:3], v[6:7], v[4:5]
	s_clause 0x1
	scratch_load_b32 v4, off, off
	scratch_load_b32 v5, off, off offset:168
	v_add_f64_e32 v[0:1], v[8:9], v[0:1]
	s_wait_loadcnt 0x0
	v_lshl_add_u32 v4, v5, 4, v4
	ds_store_b128 v4, v[0:3] offset:7488
	ds_store_b128 v4, v[108:111] offset:7696
	;; [unrolled: 1-line block ×3, first 2 shown]
.LBB0_5:
	s_wait_alu 0xfffe
	s_or_b32 exec_lo, exec_lo, s2
	v_mad_co_u64_u32 v[0:1], null, 0xc0, v37, s[10:11]
	scratch_store_b32 off, v37, off offset:52 ; 4-byte Folded Spill
	global_wb scope:SCOPE_SE
	s_wait_storecnt_dscnt 0x0
	s_barrier_signal -1
	s_barrier_wait -1
	global_inv scope:SCOPE_SE
	s_mov_b32 s30, 0x4267c47c
	s_clause 0x3
	global_load_b128 v[72:75], v[0:1], off offset:416
	global_load_b128 v[64:67], v[0:1], off offset:432
	;; [unrolled: 1-line block ×4, first 2 shown]
	ds_load_b128 v[116:119], v19 offset:624
	ds_load_b128 v[4:7], v19
	ds_load_b128 v[8:11], v19 offset:1248
	ds_load_b128 v[12:15], v19 offset:1872
	s_mov_b32 s18, 0x42a4c3d2
	s_mov_b32 s20, 0x66966769
	;; [unrolled: 1-line block ×24, first 2 shown]
	s_wait_alu 0xfffe
	s_mov_b32 s38, s10
	s_mov_b32 s35, 0x3fefc445
	;; [unrolled: 1-line block ×11, first 2 shown]
	s_add_nc_u64 s[8:9], s[8:9], 0x1fb0
	s_wait_loadcnt_dscnt 0x303
	v_mul_f64_e32 v[2:3], v[118:119], v[74:75]
	v_mul_f64_e32 v[16:17], v[116:117], v[74:75]
	s_wait_loadcnt_dscnt 0x201
	v_mul_f64_e32 v[22:23], v[8:9], v[66:67]
	s_delay_alu instid0(VALU_DEP_3) | instskip(SKIP_1) | instid1(VALU_DEP_4)
	v_fma_f64 v[20:21], v[116:117], v[72:73], -v[2:3]
	v_mul_f64_e32 v[2:3], v[10:11], v[66:67]
	v_fma_f64 v[16:17], v[118:119], v[72:73], v[16:17]
	s_delay_alu instid0(VALU_DEP_4) | instskip(NEXT) | instid1(VALU_DEP_3)
	v_fma_f64 v[160:161], v[10:11], v[64:65], v[22:23]
	v_fma_f64 v[158:159], v[8:9], v[64:65], -v[2:3]
	s_wait_loadcnt_dscnt 0x100
	v_mul_f64_e32 v[2:3], v[14:15], v[62:63]
	v_mul_f64_e32 v[8:9], v[12:13], v[62:63]
	s_delay_alu instid0(VALU_DEP_2) | instskip(NEXT) | instid1(VALU_DEP_2)
	v_fma_f64 v[162:163], v[12:13], v[60:61], -v[2:3]
	v_fma_f64 v[164:165], v[14:15], v[60:61], v[8:9]
	ds_load_b128 v[8:11], v19 offset:2496
	ds_load_b128 v[12:15], v19 offset:3120
	s_clause 0x1
	global_load_b128 v[120:123], v[0:1], off offset:480
	global_load_b128 v[116:119], v[0:1], off offset:496
	s_wait_loadcnt_dscnt 0x201
	v_mul_f64_e32 v[2:3], v[10:11], v[70:71]
	s_delay_alu instid0(VALU_DEP_1) | instskip(SKIP_1) | instid1(VALU_DEP_1)
	v_fma_f64 v[166:167], v[8:9], v[68:69], -v[2:3]
	v_mul_f64_e32 v[2:3], v[8:9], v[70:71]
	v_fma_f64 v[168:169], v[10:11], v[68:69], v[2:3]
	s_wait_loadcnt_dscnt 0x100
	v_mul_f64_e32 v[2:3], v[14:15], v[122:123]
	s_delay_alu instid0(VALU_DEP_1) | instskip(SKIP_1) | instid1(VALU_DEP_1)
	v_fma_f64 v[170:171], v[12:13], v[120:121], -v[2:3]
	v_mul_f64_e32 v[2:3], v[12:13], v[122:123]
	v_fma_f64 v[172:173], v[14:15], v[120:121], v[2:3]
	ds_load_b128 v[8:11], v19 offset:3744
	ds_load_b128 v[12:15], v19 offset:4368
	s_clause 0x1
	global_load_b128 v[128:131], v[0:1], off offset:512
	global_load_b128 v[124:127], v[0:1], off offset:528
	s_wait_loadcnt_dscnt 0x201
	v_mul_f64_e32 v[2:3], v[10:11], v[118:119]
	s_delay_alu instid0(VALU_DEP_1) | instskip(SKIP_1) | instid1(VALU_DEP_1)
	v_fma_f64 v[174:175], v[8:9], v[116:117], -v[2:3]
	v_mul_f64_e32 v[2:3], v[8:9], v[118:119]
	v_fma_f64 v[176:177], v[10:11], v[116:117], v[2:3]
	s_wait_loadcnt_dscnt 0x100
	v_mul_f64_e32 v[2:3], v[14:15], v[130:131]
	s_delay_alu instid0(VALU_DEP_1) | instskip(SKIP_1) | instid1(VALU_DEP_2)
	v_fma_f64 v[178:179], v[12:13], v[128:129], -v[2:3]
	v_mul_f64_e32 v[2:3], v[12:13], v[130:131]
	v_add_f64_e32 v[30:31], v[174:175], v[178:179]
	s_delay_alu instid0(VALU_DEP_2)
	v_fma_f64 v[180:181], v[14:15], v[128:129], v[2:3]
	ds_load_b128 v[8:11], v19 offset:4992
	ds_load_b128 v[12:15], v19 offset:5616
	s_clause 0x1
	global_load_b128 v[132:135], v[0:1], off offset:544
	global_load_b128 v[136:139], v[0:1], off offset:560
	s_wait_loadcnt_dscnt 0x201
	v_mul_f64_e32 v[2:3], v[10:11], v[126:127]
	v_add_f64_e64 v[28:29], v[176:177], -v[180:181]
	v_add_f64_e32 v[36:37], v[176:177], v[180:181]
	s_delay_alu instid0(VALU_DEP_3) | instskip(SKIP_1) | instid1(VALU_DEP_4)
	v_fma_f64 v[182:183], v[8:9], v[124:125], -v[2:3]
	v_mul_f64_e32 v[2:3], v[8:9], v[126:127]
	v_mul_f64_e32 v[32:33], s[2:3], v[28:29]
	s_delay_alu instid0(VALU_DEP_2) | instskip(NEXT) | instid1(VALU_DEP_2)
	v_fma_f64 v[184:185], v[10:11], v[124:125], v[2:3]
	v_fma_f64 v[34:35], v[30:31], s[12:13], -v[32:33]
	s_delay_alu instid0(VALU_DEP_2) | instskip(SKIP_2) | instid1(VALU_DEP_1)
	v_add_f64_e64 v[241:242], v[172:173], -v[184:185]
	s_wait_loadcnt_dscnt 0x100
	v_mul_f64_e32 v[2:3], v[14:15], v[134:135]
	v_fma_f64 v[186:187], v[12:13], v[132:133], -v[2:3]
	v_mul_f64_e32 v[2:3], v[12:13], v[134:135]
	s_delay_alu instid0(VALU_DEP_2) | instskip(NEXT) | instid1(VALU_DEP_2)
	v_add_f64_e32 v[249:250], v[166:167], v[186:187]
	v_fma_f64 v[188:189], v[14:15], v[132:133], v[2:3]
	ds_load_b128 v[8:11], v19 offset:6240
	ds_load_b128 v[12:15], v19 offset:6864
	s_clause 0x1
	global_load_b128 v[140:143], v[0:1], off offset:576
	global_load_b128 v[144:147], v[0:1], off offset:592
	s_wait_loadcnt_dscnt 0x201
	v_mul_f64_e32 v[2:3], v[10:11], v[138:139]
	v_add_f64_e32 v[253:254], v[168:169], v[188:189]
	s_delay_alu instid0(VALU_DEP_2) | instskip(SKIP_1) | instid1(VALU_DEP_2)
	v_fma_f64 v[190:191], v[8:9], v[136:137], -v[2:3]
	v_mul_f64_e32 v[2:3], v[8:9], v[138:139]
	v_add_f64_e64 v[245:246], v[162:163], -v[190:191]
	s_delay_alu instid0(VALU_DEP_2) | instskip(NEXT) | instid1(VALU_DEP_1)
	v_fma_f64 v[192:193], v[10:11], v[136:137], v[2:3]
	v_add_f64_e64 v[243:244], v[164:165], -v[192:193]
	s_wait_loadcnt_dscnt 0x100
	v_mul_f64_e32 v[0:1], v[14:15], v[142:143]
	s_delay_alu instid0(VALU_DEP_1) | instskip(SKIP_1) | instid1(VALU_DEP_1)
	v_fma_f64 v[194:195], v[12:13], v[140:141], -v[0:1]
	v_mul_f64_e32 v[0:1], v[12:13], v[142:143]
	v_fma_f64 v[196:197], v[14:15], v[140:141], v[0:1]
	ds_load_b128 v[0:3], v19 offset:7488
	s_wait_loadcnt_dscnt 0x0
	v_mul_f64_e32 v[8:9], v[0:1], v[146:147]
	s_delay_alu instid0(VALU_DEP_1) | instskip(SKIP_1) | instid1(VALU_DEP_2)
	v_fma_f64 v[198:199], v[2:3], v[144:145], v[8:9]
	v_mul_f64_e32 v[2:3], v[2:3], v[146:147]
	v_add_f64_e32 v[207:208], v[16:17], v[198:199]
	s_delay_alu instid0(VALU_DEP_2) | instskip(SKIP_1) | instid1(VALU_DEP_2)
	v_fma_f64 v[201:202], v[0:1], v[144:145], -v[2:3]
	v_add_f64_e64 v[0:1], v[16:17], -v[198:199]
	v_add_f64_e32 v[22:23], v[20:21], v[201:202]
	s_delay_alu instid0(VALU_DEP_2)
	v_mul_f64_e32 v[2:3], s[30:31], v[0:1]
	v_mul_f64_e32 v[8:9], s[18:19], v[0:1]
	v_mul_f64_e32 v[10:11], s[20:21], v[0:1]
	v_mul_f64_e32 v[12:13], s[14:15], v[0:1]
	v_mul_f64_e32 v[14:15], s[10:11], v[0:1]
	v_mul_f64_e32 v[0:1], s[2:3], v[0:1]
	v_fma_f64 v[24:25], v[22:23], s[28:29], -v[2:3]
	v_fma_f64 v[2:3], v[22:23], s[28:29], v[2:3]
	v_fma_f64 v[26:27], v[22:23], s[24:25], -v[8:9]
	v_fma_f64 v[8:9], v[22:23], s[24:25], v[8:9]
	;; [unrolled: 2-line block ×6, first 2 shown]
	v_add_f64_e64 v[0:1], v[20:21], -v[201:202]
	v_add_f64_e32 v[233:234], v[4:5], v[26:27]
	v_add_f64_e32 v[251:252], v[4:5], v[10:11]
	s_delay_alu instid0(VALU_DEP_3)
	v_mul_f64_e32 v[205:206], s[10:11], v[0:1]
	v_mul_f64_e32 v[14:15], s[30:31], v[0:1]
	;; [unrolled: 1-line block ×6, first 2 shown]
	v_fma_f64 v[229:230], v[207:208], s[16:17], v[205:206]
	v_fma_f64 v[209:210], v[207:208], s[28:29], v[14:15]
	v_fma_f64 v[14:15], v[207:208], s[28:29], -v[14:15]
	v_fma_f64 v[217:218], v[207:208], s[24:25], v[152:153]
	v_fma_f64 v[219:220], v[207:208], s[24:25], -v[152:153]
	;; [unrolled: 2-line block ×4, first 2 shown]
	v_fma_f64 v[235:236], v[207:208], s[16:17], -v[205:206]
	v_fma_f64 v[237:238], v[207:208], s[12:13], v[0:1]
	v_fma_f64 v[239:240], v[207:208], s[12:13], -v[0:1]
	v_add_f64_e32 v[207:208], v[4:5], v[8:9]
	v_add_f64_e32 v[0:1], v[4:5], v[20:21]
	;; [unrolled: 1-line block ×10, first 2 shown]
	v_add_f64_e64 v[219:220], v[160:161], -v[196:197]
	v_add_f64_e32 v[231:232], v[6:7], v[217:218]
	v_add_f64_e32 v[14:15], v[6:7], v[225:226]
	;; [unrolled: 1-line block ×8, first 2 shown]
	v_add_f64_e64 v[223:224], v[166:167], -v[186:187]
	scratch_store_b64 off, v[8:9], off offset:252 ; 8-byte Folded Spill
	v_add_f64_e32 v[8:9], v[4:5], v[213:214]
	v_add_f64_e32 v[213:214], v[160:161], v[196:197]
	scratch_store_b64 off, v[8:9], off offset:244 ; 8-byte Folded Spill
	v_add_f64_e32 v[8:9], v[6:7], v[235:236]
	v_mul_f64_e32 v[235:236], s[18:19], v[219:220]
	scratch_store_b64 off, v[8:9], off offset:236 ; 8-byte Folded Spill
	v_add_f64_e32 v[8:9], v[4:5], v[215:216]
	v_add_f64_e64 v[215:216], v[168:169], -v[188:189]
	scratch_store_b64 off, v[8:9], off offset:228 ; 8-byte Folded Spill
	v_add_f64_e32 v[8:9], v[6:7], v[237:238]
	scratch_store_b64 off, v[0:1], off offset:188 ; 8-byte Folded Spill
	v_add_f64_e32 v[0:1], v[6:7], v[16:17]
	v_add_f64_e32 v[16:17], v[4:5], v[24:25]
	;; [unrolled: 1-line block ×3, first 2 shown]
	v_mul_f64_e32 v[22:23], s[10:11], v[241:242]
	s_clause 0x1
	scratch_store_b64 off, v[8:9], off offset:220
	scratch_store_b64 off, v[0:1], off offset:196
	v_add_f64_e32 v[0:1], v[6:7], v[221:222]
	scratch_store_b64 off, v[4:5], off offset:204 ; 8-byte Folded Spill
	v_add_f64_e32 v[4:5], v[6:7], v[239:240]
	v_add_f64_e64 v[221:222], v[158:159], -v[194:195]
	v_mul_f64_e32 v[239:240], s[14:15], v[223:224]
	scratch_store_b64 off, v[4:5], off offset:212 ; 8-byte Folded Spill
	v_fma_f64 v[4:5], v[211:212], s[24:25], -v[235:236]
	v_mul_f64_e32 v[237:238], s[18:19], v[221:222]
	s_delay_alu instid0(VALU_DEP_2) | instskip(NEXT) | instid1(VALU_DEP_2)
	v_add_f64_e32 v[6:7], v[4:5], v[16:17]
	v_fma_f64 v[4:5], v[213:214], s[24:25], v[237:238]
	s_delay_alu instid0(VALU_DEP_1) | instskip(SKIP_1) | instid1(VALU_DEP_1)
	v_add_f64_e32 v[8:9], v[4:5], v[20:21]
	v_mul_f64_e32 v[4:5], s[20:21], v[243:244]
	v_fma_f64 v[10:11], v[227:228], s[26:27], -v[4:5]
	v_fma_f64 v[4:5], v[227:228], s[26:27], v[4:5]
	s_delay_alu instid0(VALU_DEP_2) | instskip(SKIP_1) | instid1(VALU_DEP_1)
	v_add_f64_e32 v[10:11], v[10:11], v[6:7]
	v_mul_f64_e32 v[6:7], s[20:21], v[245:246]
	v_fma_f64 v[12:13], v[229:230], s[26:27], v[6:7]
	v_fma_f64 v[6:7], v[229:230], s[26:27], -v[6:7]
	s_delay_alu instid0(VALU_DEP_2) | instskip(SKIP_1) | instid1(VALU_DEP_1)
	v_add_f64_e32 v[8:9], v[12:13], v[8:9]
	v_mul_f64_e32 v[12:13], s[14:15], v[215:216]
	v_fma_f64 v[16:17], v[249:250], s[22:23], -v[12:13]
	v_fma_f64 v[12:13], v[249:250], s[22:23], v[12:13]
	s_delay_alu instid0(VALU_DEP_2) | instskip(SKIP_1) | instid1(VALU_DEP_1)
	v_add_f64_e32 v[10:11], v[16:17], v[10:11]
	v_fma_f64 v[16:17], v[253:254], s[22:23], v[239:240]
	v_add_f64_e32 v[20:21], v[16:17], v[8:9]
	v_add_f64_e32 v[8:9], v[170:171], v[182:183]
	s_delay_alu instid0(VALU_DEP_1) | instskip(NEXT) | instid1(VALU_DEP_1)
	v_fma_f64 v[16:17], v[8:9], s[16:17], -v[22:23]
	v_add_f64_e32 v[24:25], v[16:17], v[10:11]
	v_add_f64_e64 v[16:17], v[170:171], -v[182:183]
	v_add_f64_e32 v[10:11], v[172:173], v[184:185]
	s_delay_alu instid0(VALU_DEP_2) | instskip(NEXT) | instid1(VALU_DEP_1)
	v_mul_f64_e32 v[26:27], s[10:11], v[16:17]
	v_fma_f64 v[148:149], v[10:11], s[16:17], v[26:27]
	s_delay_alu instid0(VALU_DEP_1) | instskip(SKIP_2) | instid1(VALU_DEP_1)
	v_add_f64_e32 v[20:21], v[148:149], v[20:21]
	v_add_f64_e32 v[148:149], v[34:35], v[24:25]
	v_add_f64_e64 v[34:35], v[174:175], -v[178:179]
	v_mul_f64_e32 v[24:25], s[2:3], v[34:35]
	s_delay_alu instid0(VALU_DEP_1) | instskip(NEXT) | instid1(VALU_DEP_1)
	v_fma_f64 v[38:39], v[36:37], s[12:13], v[24:25]
	v_add_f64_e32 v[150:151], v[38:39], v[20:21]
	v_fma_f64 v[20:21], v[211:212], s[24:25], v[235:236]
	v_fma_f64 v[38:39], v[213:214], s[24:25], -v[237:238]
	s_delay_alu instid0(VALU_DEP_2) | instskip(NEXT) | instid1(VALU_DEP_2)
	v_add_f64_e32 v[20:21], v[20:21], v[154:155]
	v_add_f64_e32 v[38:39], v[38:39], v[152:153]
	s_delay_alu instid0(VALU_DEP_2) | instskip(NEXT) | instid1(VALU_DEP_2)
	v_add_f64_e32 v[4:5], v[4:5], v[20:21]
	v_add_f64_e32 v[6:7], v[6:7], v[38:39]
	v_fma_f64 v[20:21], v[36:37], s[12:13], -v[24:25]
	s_delay_alu instid0(VALU_DEP_3) | instskip(SKIP_1) | instid1(VALU_DEP_1)
	v_add_f64_e32 v[4:5], v[12:13], v[4:5]
	v_fma_f64 v[12:13], v[253:254], s[22:23], -v[239:240]
	v_add_f64_e32 v[6:7], v[12:13], v[6:7]
	v_fma_f64 v[12:13], v[8:9], s[16:17], v[22:23]
	v_mul_f64_e32 v[22:23], s[2:3], v[243:244]
	s_delay_alu instid0(VALU_DEP_2) | instskip(SKIP_1) | instid1(VALU_DEP_3)
	v_add_f64_e32 v[4:5], v[12:13], v[4:5]
	v_fma_f64 v[12:13], v[10:11], s[16:17], -v[26:27]
	v_fma_f64 v[24:25], v[227:228], s[12:13], -v[22:23]
	v_fma_f64 v[22:23], v[227:228], s[12:13], v[22:23]
	s_delay_alu instid0(VALU_DEP_3) | instskip(SKIP_1) | instid1(VALU_DEP_2)
	v_add_f64_e32 v[6:7], v[12:13], v[6:7]
	v_fma_f64 v[12:13], v[30:31], s[12:13], v[32:33]
	v_add_f64_e32 v[154:155], v[20:21], v[6:7]
	s_delay_alu instid0(VALU_DEP_2) | instskip(SKIP_2) | instid1(VALU_DEP_2)
	v_add_f64_e32 v[152:153], v[12:13], v[4:5]
	v_mul_f64_e32 v[12:13], s[14:15], v[219:220]
	v_mul_f64_e32 v[20:21], s[14:15], v[221:222]
	v_fma_f64 v[4:5], v[211:212], s[22:23], -v[12:13]
	s_delay_alu instid0(VALU_DEP_2) | instskip(SKIP_2) | instid1(VALU_DEP_4)
	v_fma_f64 v[6:7], v[213:214], s[22:23], v[20:21]
	v_fma_f64 v[12:13], v[211:212], s[22:23], v[12:13]
	v_fma_f64 v[20:21], v[213:214], s[22:23], -v[20:21]
	v_add_f64_e32 v[4:5], v[4:5], v[233:234]
	s_delay_alu instid0(VALU_DEP_4) | instskip(NEXT) | instid1(VALU_DEP_4)
	v_add_f64_e32 v[6:7], v[6:7], v[231:232]
	v_add_f64_e32 v[12:13], v[12:13], v[207:208]
	s_delay_alu instid0(VALU_DEP_4) | instskip(NEXT) | instid1(VALU_DEP_4)
	v_add_f64_e32 v[20:21], v[20:21], v[205:206]
	v_add_f64_e32 v[4:5], v[24:25], v[4:5]
	v_mul_f64_e32 v[24:25], s[2:3], v[245:246]
	s_delay_alu instid0(VALU_DEP_4) | instskip(NEXT) | instid1(VALU_DEP_2)
	v_add_f64_e32 v[12:13], v[22:23], v[12:13]
	v_fma_f64 v[26:27], v[229:230], s[12:13], v[24:25]
	v_fma_f64 v[22:23], v[229:230], s[12:13], -v[24:25]
	s_delay_alu instid0(VALU_DEP_2) | instskip(SKIP_2) | instid1(VALU_DEP_3)
	v_add_f64_e32 v[6:7], v[26:27], v[6:7]
	s_wait_alu 0xfffe
	v_mul_f64_e32 v[26:27], s[38:39], v[215:216]
	v_add_f64_e32 v[20:21], v[22:23], v[20:21]
	s_delay_alu instid0(VALU_DEP_2) | instskip(SKIP_1) | instid1(VALU_DEP_2)
	v_fma_f64 v[32:33], v[249:250], s[16:17], -v[26:27]
	v_fma_f64 v[22:23], v[249:250], s[16:17], v[26:27]
	v_add_f64_e32 v[4:5], v[32:33], v[4:5]
	v_mul_f64_e32 v[32:33], s[38:39], v[223:224]
	s_delay_alu instid0(VALU_DEP_3) | instskip(NEXT) | instid1(VALU_DEP_2)
	v_add_f64_e32 v[12:13], v[22:23], v[12:13]
	v_fma_f64 v[38:39], v[253:254], s[16:17], v[32:33]
	v_fma_f64 v[22:23], v[253:254], s[16:17], -v[32:33]
	s_delay_alu instid0(VALU_DEP_2) | instskip(SKIP_1) | instid1(VALU_DEP_3)
	v_add_f64_e32 v[6:7], v[38:39], v[6:7]
	v_mul_f64_e32 v[38:39], s[34:35], v[241:242]
	v_add_f64_e32 v[20:21], v[22:23], v[20:21]
	s_delay_alu instid0(VALU_DEP_2) | instskip(SKIP_1) | instid1(VALU_DEP_2)
	v_fma_f64 v[231:232], v[8:9], s[26:27], -v[38:39]
	v_fma_f64 v[22:23], v[8:9], s[26:27], v[38:39]
	v_add_f64_e32 v[4:5], v[231:232], v[4:5]
	v_mul_f64_e32 v[231:232], s[34:35], v[16:17]
	s_delay_alu instid0(VALU_DEP_3) | instskip(NEXT) | instid1(VALU_DEP_2)
	v_add_f64_e32 v[12:13], v[22:23], v[12:13]
	v_fma_f64 v[233:234], v[10:11], s[26:27], v[231:232]
	v_fma_f64 v[22:23], v[10:11], s[26:27], -v[231:232]
	s_delay_alu instid0(VALU_DEP_2) | instskip(SKIP_1) | instid1(VALU_DEP_3)
	v_add_f64_e32 v[6:7], v[233:234], v[6:7]
	v_mul_f64_e32 v[233:234], s[36:37], v[28:29]
	v_add_f64_e32 v[20:21], v[22:23], v[20:21]
	s_delay_alu instid0(VALU_DEP_2) | instskip(SKIP_1) | instid1(VALU_DEP_2)
	v_fma_f64 v[235:236], v[30:31], s[28:29], -v[233:234]
	v_fma_f64 v[22:23], v[30:31], s[28:29], v[233:234]
	v_add_f64_e32 v[4:5], v[235:236], v[4:5]
	v_mul_f64_e32 v[235:236], s[36:37], v[34:35]
	s_delay_alu instid0(VALU_DEP_3) | instskip(SKIP_2) | instid1(VALU_DEP_4)
	v_add_f64_e32 v[205:206], v[22:23], v[12:13]
	v_mul_f64_e32 v[22:23], s[2:3], v[221:222]
	v_mul_f64_e32 v[12:13], s[2:3], v[219:220]
	v_fma_f64 v[24:25], v[36:37], s[28:29], -v[235:236]
	v_fma_f64 v[237:238], v[36:37], s[28:29], v[235:236]
	v_mul_f64_e32 v[235:236], s[18:19], v[16:17]
	s_delay_alu instid0(VALU_DEP_3) | instskip(SKIP_4) | instid1(VALU_DEP_4)
	v_add_f64_e32 v[207:208], v[24:25], v[20:21]
	v_fma_f64 v[24:25], v[213:214], s[12:13], v[22:23]
	v_fma_f64 v[20:21], v[211:212], s[12:13], -v[12:13]
	v_add_f64_e32 v[6:7], v[237:238], v[6:7]
	v_mul_f64_e32 v[237:238], s[10:11], v[28:29]
	v_add_f64_e32 v[0:1], v[24:25], v[0:1]
	v_mul_f64_e32 v[24:25], s[40:41], v[243:244]
	v_add_f64_e32 v[20:21], v[20:21], v[203:204]
	s_delay_alu instid0(VALU_DEP_2) | instskip(NEXT) | instid1(VALU_DEP_1)
	v_fma_f64 v[26:27], v[227:228], s[22:23], -v[24:25]
	v_add_f64_e32 v[20:21], v[26:27], v[20:21]
	v_mul_f64_e32 v[26:27], s[40:41], v[245:246]
	s_delay_alu instid0(VALU_DEP_1) | instskip(NEXT) | instid1(VALU_DEP_1)
	v_fma_f64 v[32:33], v[229:230], s[22:23], v[26:27]
	v_add_f64_e32 v[0:1], v[32:33], v[0:1]
	v_mul_f64_e32 v[32:33], s[36:37], v[215:216]
	s_delay_alu instid0(VALU_DEP_1) | instskip(NEXT) | instid1(VALU_DEP_1)
	v_fma_f64 v[38:39], v[249:250], s[28:29], -v[32:33]
	v_add_f64_e32 v[20:21], v[38:39], v[20:21]
	v_mul_f64_e32 v[38:39], s[36:37], v[223:224]
	s_delay_alu instid0(VALU_DEP_1) | instskip(NEXT) | instid1(VALU_DEP_1)
	v_fma_f64 v[203:204], v[253:254], s[28:29], v[38:39]
	v_add_f64_e32 v[0:1], v[203:204], v[0:1]
	v_mul_f64_e32 v[203:204], s[18:19], v[241:242]
	s_delay_alu instid0(VALU_DEP_1) | instskip(NEXT) | instid1(VALU_DEP_1)
	v_fma_f64 v[231:232], v[8:9], s[24:25], -v[203:204]
	v_add_f64_e32 v[20:21], v[231:232], v[20:21]
	v_fma_f64 v[231:232], v[10:11], s[24:25], v[235:236]
	s_delay_alu instid0(VALU_DEP_1) | instskip(SKIP_1) | instid1(VALU_DEP_1)
	v_add_f64_e32 v[0:1], v[231:232], v[0:1]
	v_fma_f64 v[231:232], v[30:31], s[16:17], -v[237:238]
	v_add_f64_e32 v[231:232], v[231:232], v[20:21]
	v_mul_f64_e32 v[20:21], s[10:11], v[34:35]
	s_delay_alu instid0(VALU_DEP_1) | instskip(SKIP_1) | instid1(VALU_DEP_2)
	v_fma_f64 v[233:234], v[36:37], s[16:17], v[20:21]
	v_fma_f64 v[20:21], v[36:37], s[16:17], -v[20:21]
	v_add_f64_e32 v[233:234], v[233:234], v[0:1]
	v_fma_f64 v[0:1], v[211:212], s[12:13], v[12:13]
	v_fma_f64 v[12:13], v[213:214], s[12:13], -v[22:23]
	v_fma_f64 v[22:23], v[227:228], s[22:23], v[24:25]
	s_delay_alu instid0(VALU_DEP_3) | instskip(NEXT) | instid1(VALU_DEP_3)
	v_add_f64_e32 v[0:1], v[0:1], v[251:252]
	v_add_f64_e32 v[12:13], v[12:13], v[247:248]
	s_delay_alu instid0(VALU_DEP_2) | instskip(SKIP_1) | instid1(VALU_DEP_1)
	v_add_f64_e32 v[0:1], v[22:23], v[0:1]
	v_fma_f64 v[22:23], v[229:230], s[22:23], -v[26:27]
	v_add_f64_e32 v[12:13], v[22:23], v[12:13]
	v_fma_f64 v[22:23], v[249:250], s[28:29], v[32:33]
	s_delay_alu instid0(VALU_DEP_1) | instskip(SKIP_1) | instid1(VALU_DEP_1)
	v_add_f64_e32 v[0:1], v[22:23], v[0:1]
	v_fma_f64 v[22:23], v[253:254], s[28:29], -v[38:39]
	v_add_f64_e32 v[12:13], v[22:23], v[12:13]
	v_fma_f64 v[22:23], v[8:9], s[24:25], v[203:204]
	s_delay_alu instid0(VALU_DEP_1) | instskip(SKIP_1) | instid1(VALU_DEP_1)
	v_add_f64_e32 v[0:1], v[22:23], v[0:1]
	v_fma_f64 v[22:23], v[10:11], s[24:25], -v[235:236]
	v_add_f64_e32 v[12:13], v[22:23], v[12:13]
	v_fma_f64 v[22:23], v[30:31], s[16:17], v[237:238]
	s_delay_alu instid0(VALU_DEP_2) | instskip(SKIP_1) | instid1(VALU_DEP_3)
	v_add_f64_e32 v[237:238], v[20:21], v[12:13]
	v_mul_f64_e32 v[12:13], s[38:39], v[219:220]
	v_add_f64_e32 v[235:236], v[22:23], v[0:1]
	v_mul_f64_e32 v[20:21], s[38:39], v[221:222]
	s_delay_alu instid0(VALU_DEP_3) | instskip(SKIP_1) | instid1(VALU_DEP_2)
	v_fma_f64 v[0:1], v[211:212], s[16:17], -v[12:13]
	v_fma_f64 v[12:13], v[211:212], s[16:17], v[12:13]
	v_add_f64_e32 v[0:1], v[0:1], v[2:3]
	s_delay_alu instid0(VALU_DEP_4) | instskip(NEXT) | instid1(VALU_DEP_3)
	v_fma_f64 v[2:3], v[213:214], s[16:17], v[20:21]
	v_add_f64_e32 v[12:13], v[12:13], v[209:210]
	v_fma_f64 v[20:21], v[213:214], s[16:17], -v[20:21]
	s_delay_alu instid0(VALU_DEP_3) | instskip(SKIP_1) | instid1(VALU_DEP_3)
	v_add_f64_e32 v[2:3], v[2:3], v[14:15]
	v_mul_f64_e32 v[14:15], s[36:37], v[243:244]
	v_add_f64_e32 v[20:21], v[20:21], v[217:218]
	s_delay_alu instid0(VALU_DEP_2) | instskip(SKIP_1) | instid1(VALU_DEP_2)
	v_fma_f64 v[22:23], v[227:228], s[28:29], -v[14:15]
	v_fma_f64 v[14:15], v[227:228], s[28:29], v[14:15]
	v_add_f64_e32 v[0:1], v[22:23], v[0:1]
	v_mul_f64_e32 v[22:23], s[36:37], v[245:246]
	s_delay_alu instid0(VALU_DEP_3) | instskip(NEXT) | instid1(VALU_DEP_2)
	v_add_f64_e32 v[12:13], v[14:15], v[12:13]
	v_fma_f64 v[24:25], v[229:230], s[28:29], v[22:23]
	v_fma_f64 v[14:15], v[229:230], s[28:29], -v[22:23]
	s_delay_alu instid0(VALU_DEP_2) | instskip(SKIP_1) | instid1(VALU_DEP_3)
	v_add_f64_e32 v[2:3], v[24:25], v[2:3]
	v_mul_f64_e32 v[24:25], s[20:21], v[215:216]
	v_add_f64_e32 v[14:15], v[14:15], v[20:21]
	s_delay_alu instid0(VALU_DEP_2) | instskip(SKIP_2) | instid1(VALU_DEP_3)
	v_fma_f64 v[26:27], v[249:250], s[26:27], -v[24:25]
	v_fma_f64 v[20:21], v[249:250], s[26:27], v[24:25]
	v_mul_f64_e32 v[24:25], s[34:35], v[219:220]
	v_add_f64_e32 v[0:1], v[26:27], v[0:1]
	v_mul_f64_e32 v[26:27], s[20:21], v[223:224]
	s_delay_alu instid0(VALU_DEP_4) | instskip(NEXT) | instid1(VALU_DEP_2)
	v_add_f64_e32 v[12:13], v[20:21], v[12:13]
	v_fma_f64 v[32:33], v[253:254], s[26:27], v[26:27]
	v_fma_f64 v[20:21], v[253:254], s[26:27], -v[26:27]
	v_mul_f64_e32 v[26:27], s[34:35], v[221:222]
	s_delay_alu instid0(VALU_DEP_3) | instskip(SKIP_1) | instid1(VALU_DEP_4)
	v_add_f64_e32 v[2:3], v[32:33], v[2:3]
	v_mul_f64_e32 v[32:33], s[44:45], v[241:242]
	v_add_f64_e32 v[14:15], v[20:21], v[14:15]
	s_delay_alu instid0(VALU_DEP_2)
	v_fma_f64 v[38:39], v[8:9], s[12:13], -v[32:33]
	v_fma_f64 v[20:21], v[8:9], s[12:13], v[32:33]
	scratch_load_b64 v[32:33], off, off offset:252 th:TH_LOAD_LU ; 8-byte Folded Reload
	v_add_f64_e32 v[0:1], v[38:39], v[0:1]
	v_mul_f64_e32 v[38:39], s[44:45], v[16:17]
	v_add_f64_e32 v[12:13], v[20:21], v[12:13]
	s_delay_alu instid0(VALU_DEP_2) | instskip(SKIP_1) | instid1(VALU_DEP_2)
	v_fma_f64 v[203:204], v[10:11], s[12:13], v[38:39]
	v_fma_f64 v[20:21], v[10:11], s[12:13], -v[38:39]
	v_add_f64_e32 v[2:3], v[203:204], v[2:3]
	v_mul_f64_e32 v[203:204], s[42:43], v[28:29]
	s_delay_alu instid0(VALU_DEP_3) | instskip(NEXT) | instid1(VALU_DEP_2)
	v_add_f64_e32 v[14:15], v[20:21], v[14:15]
	v_fma_f64 v[239:240], v[30:31], s[24:25], -v[203:204]
	v_fma_f64 v[20:21], v[30:31], s[24:25], v[203:204]
	s_delay_alu instid0(VALU_DEP_2) | instskip(SKIP_1) | instid1(VALU_DEP_3)
	v_add_f64_e32 v[0:1], v[239:240], v[0:1]
	v_mul_f64_e32 v[239:240], s[42:43], v[34:35]
	v_add_f64_e32 v[12:13], v[20:21], v[12:13]
	v_fma_f64 v[20:21], v[211:212], s[26:27], -v[24:25]
	v_fma_f64 v[24:25], v[211:212], s[26:27], v[24:25]
	s_delay_alu instid0(VALU_DEP_4) | instskip(SKIP_1) | instid1(VALU_DEP_4)
	v_fma_f64 v[22:23], v[36:37], s[24:25], -v[239:240]
	v_fma_f64 v[247:248], v[36:37], s[24:25], v[239:240]
	v_add_f64_e32 v[20:21], v[20:21], v[225:226]
	s_delay_alu instid0(VALU_DEP_3) | instskip(SKIP_1) | instid1(VALU_DEP_4)
	v_add_f64_e32 v[14:15], v[22:23], v[14:15]
	v_fma_f64 v[22:23], v[213:214], s[26:27], v[26:27]
	v_add_f64_e32 v[2:3], v[247:248], v[2:3]
	v_fma_f64 v[26:27], v[213:214], s[26:27], -v[26:27]
	s_wait_loadcnt 0x0
	s_delay_alu instid0(VALU_DEP_3) | instskip(SKIP_1) | instid1(VALU_DEP_1)
	v_add_f64_e32 v[22:23], v[22:23], v[32:33]
	v_mul_f64_e32 v[32:33], s[18:19], v[243:244]
	v_fma_f64 v[38:39], v[227:228], s[24:25], -v[32:33]
	v_fma_f64 v[32:33], v[227:228], s[24:25], v[32:33]
	s_delay_alu instid0(VALU_DEP_2) | instskip(SKIP_1) | instid1(VALU_DEP_1)
	v_add_f64_e32 v[20:21], v[38:39], v[20:21]
	v_mul_f64_e32 v[38:39], s[18:19], v[245:246]
	v_fma_f64 v[203:204], v[229:230], s[24:25], v[38:39]
	s_delay_alu instid0(VALU_DEP_1) | instskip(SKIP_1) | instid1(VALU_DEP_1)
	v_add_f64_e32 v[22:23], v[203:204], v[22:23]
	v_mul_f64_e32 v[203:204], s[44:45], v[215:216]
	v_fma_f64 v[209:210], v[249:250], s[12:13], -v[203:204]
	s_delay_alu instid0(VALU_DEP_1) | instskip(SKIP_2) | instid1(VALU_DEP_2)
	v_add_f64_e32 v[20:21], v[209:210], v[20:21]
	v_mul_f64_e32 v[209:210], s[44:45], v[223:224]
	v_mul_f64_e32 v[223:224], s[42:43], v[223:224]
	v_fma_f64 v[217:218], v[253:254], s[12:13], v[209:210]
	s_delay_alu instid0(VALU_DEP_1) | instskip(SKIP_1) | instid1(VALU_DEP_1)
	v_add_f64_e32 v[22:23], v[217:218], v[22:23]
	v_mul_f64_e32 v[217:218], s[36:37], v[241:242]
	v_fma_f64 v[225:226], v[8:9], s[28:29], -v[217:218]
	s_delay_alu instid0(VALU_DEP_1) | instskip(SKIP_2) | instid1(VALU_DEP_2)
	v_add_f64_e32 v[20:21], v[225:226], v[20:21]
	v_mul_f64_e32 v[225:226], s[36:37], v[16:17]
	v_mul_f64_e32 v[16:17], s[14:15], v[16:17]
	v_fma_f64 v[239:240], v[10:11], s[28:29], v[225:226]
	s_delay_alu instid0(VALU_DEP_1) | instskip(SKIP_2) | instid1(VALU_DEP_2)
	v_add_f64_e32 v[22:23], v[239:240], v[22:23]
	v_mul_f64_e32 v[239:240], s[14:15], v[28:29]
	v_mul_f64_e32 v[28:29], s[34:35], v[28:29]
	v_fma_f64 v[247:248], v[30:31], s[22:23], -v[239:240]
	s_delay_alu instid0(VALU_DEP_1) | instskip(SKIP_2) | instid1(VALU_DEP_2)
	v_add_f64_e32 v[20:21], v[247:248], v[20:21]
	v_mul_f64_e32 v[247:248], s[14:15], v[34:35]
	v_mul_f64_e32 v[34:35], s[34:35], v[34:35]
	v_fma_f64 v[251:252], v[36:37], s[22:23], v[247:248]
	s_delay_alu instid0(VALU_DEP_1)
	v_add_f64_e32 v[22:23], v[251:252], v[22:23]
	scratch_load_b64 v[251:252], off, off offset:244 th:TH_LOAD_LU ; 8-byte Folded Reload
	s_wait_loadcnt 0x0
	v_add_f64_e32 v[24:25], v[24:25], v[251:252]
	scratch_load_b64 v[251:252], off, off offset:236 th:TH_LOAD_LU ; 8-byte Folded Reload
	v_add_f64_e32 v[24:25], v[32:33], v[24:25]
	v_fma_f64 v[32:33], v[229:230], s[24:25], -v[38:39]
	v_fma_f64 v[38:39], v[36:37], s[22:23], -v[247:248]
	s_wait_loadcnt 0x0
	v_add_f64_e32 v[26:27], v[26:27], v[251:252]
	s_delay_alu instid0(VALU_DEP_1) | instskip(SKIP_4) | instid1(VALU_DEP_1)
	v_add_f64_e32 v[26:27], v[32:33], v[26:27]
	v_fma_f64 v[32:33], v[249:250], s[12:13], v[203:204]
	scratch_load_b64 v[203:204], off, off offset:228 th:TH_LOAD_LU ; 8-byte Folded Reload
	v_add_f64_e32 v[24:25], v[32:33], v[24:25]
	v_fma_f64 v[32:33], v[253:254], s[12:13], -v[209:210]
	v_add_f64_e32 v[26:27], v[32:33], v[26:27]
	v_fma_f64 v[32:33], v[8:9], s[28:29], v[217:218]
	scratch_load_b64 v[217:218], off, off offset:220 th:TH_LOAD_LU ; 8-byte Folded Reload
	v_add_f64_e32 v[24:25], v[32:33], v[24:25]
	v_fma_f64 v[32:33], v[10:11], s[28:29], -v[225:226]
	v_mul_f64_e32 v[225:226], s[42:43], v[215:216]
	s_delay_alu instid0(VALU_DEP_2) | instskip(SKIP_1) | instid1(VALU_DEP_3)
	v_add_f64_e32 v[26:27], v[32:33], v[26:27]
	v_fma_f64 v[32:33], v[30:31], s[22:23], v[239:240]
	v_fma_f64 v[215:216], v[249:250], s[24:25], -v[225:226]
	v_mul_f64_e32 v[239:240], s[14:15], v[241:242]
	s_delay_alu instid0(VALU_DEP_4) | instskip(NEXT) | instid1(VALU_DEP_4)
	v_add_f64_e32 v[26:27], v[38:39], v[26:27]
	v_add_f64_e32 v[24:25], v[32:33], v[24:25]
	v_mul_f64_e32 v[32:33], s[36:37], v[219:220]
	v_mul_f64_e32 v[219:220], s[10:11], v[243:244]
	s_delay_alu instid0(VALU_DEP_2)
	v_fma_f64 v[38:39], v[211:212], s[28:29], -v[32:33]
	v_fma_f64 v[32:33], v[211:212], s[28:29], v[32:33]
	scratch_load_b64 v[211:212], off, off offset:204 th:TH_LOAD_LU ; 8-byte Folded Reload
	s_wait_loadcnt 0x0
	v_add_f64_e32 v[32:33], v[32:33], v[211:212]
	scratch_load_b64 v[211:212], off, off offset:212 th:TH_LOAD_LU ; 8-byte Folded Reload
	v_add_f64_e32 v[38:39], v[38:39], v[203:204]
	v_mul_f64_e32 v[203:204], s[36:37], v[221:222]
	v_mul_f64_e32 v[221:222], s[10:11], v[245:246]
	s_delay_alu instid0(VALU_DEP_2) | instskip(NEXT) | instid1(VALU_DEP_1)
	v_fma_f64 v[209:210], v[213:214], s[28:29], v[203:204]
	v_add_f64_e32 v[209:210], v[209:210], v[217:218]
	v_fma_f64 v[217:218], v[227:228], s[16:17], -v[219:220]
	s_delay_alu instid0(VALU_DEP_1) | instskip(SKIP_1) | instid1(VALU_DEP_2)
	v_add_f64_e32 v[38:39], v[217:218], v[38:39]
	v_fma_f64 v[217:218], v[229:230], s[16:17], v[221:222]
	v_add_f64_e32 v[38:39], v[215:216], v[38:39]
	s_delay_alu instid0(VALU_DEP_2) | instskip(SKIP_1) | instid1(VALU_DEP_1)
	v_add_f64_e32 v[209:210], v[217:218], v[209:210]
	v_fma_f64 v[215:216], v[253:254], s[24:25], v[223:224]
	v_add_f64_e32 v[209:210], v[215:216], v[209:210]
	v_fma_f64 v[215:216], v[8:9], s[22:23], -v[239:240]
	v_fma_f64 v[8:9], v[8:9], s[22:23], v[239:240]
	s_delay_alu instid0(VALU_DEP_2) | instskip(SKIP_2) | instid1(VALU_DEP_2)
	v_add_f64_e32 v[38:39], v[215:216], v[38:39]
	v_fma_f64 v[215:216], v[10:11], s[22:23], v[16:17]
	v_fma_f64 v[10:11], v[10:11], s[22:23], -v[16:17]
	v_add_f64_e32 v[209:210], v[215:216], v[209:210]
	v_fma_f64 v[215:216], v[30:31], s[26:27], -v[28:29]
	v_fma_f64 v[28:29], v[30:31], s[26:27], v[28:29]
	v_fma_f64 v[30:31], v[36:37], s[26:27], -v[34:35]
	s_delay_alu instid0(VALU_DEP_3) | instskip(SKIP_1) | instid1(VALU_DEP_1)
	v_add_f64_e32 v[215:216], v[215:216], v[38:39]
	v_fma_f64 v[38:39], v[36:37], s[26:27], v[34:35]
	v_add_f64_e32 v[217:218], v[38:39], v[209:210]
	v_fma_f64 v[38:39], v[213:214], s[28:29], -v[203:204]
	v_fma_f64 v[203:204], v[227:228], s[16:17], v[219:220]
	v_fma_f64 v[209:210], v[229:230], s[16:17], -v[221:222]
	v_fma_f64 v[213:214], v[253:254], s[24:25], -v[223:224]
	s_wait_loadcnt 0x0
	s_delay_alu instid0(VALU_DEP_4) | instskip(SKIP_2) | instid1(VALU_DEP_3)
	v_add_f64_e32 v[38:39], v[38:39], v[211:212]
	v_fma_f64 v[211:212], v[249:250], s[24:25], v[225:226]
	v_add_f64_e32 v[32:33], v[203:204], v[32:33]
	v_add_f64_e32 v[38:39], v[209:210], v[38:39]
	s_delay_alu instid0(VALU_DEP_2) | instskip(NEXT) | instid1(VALU_DEP_2)
	v_add_f64_e32 v[16:17], v[211:212], v[32:33]
	v_add_f64_e32 v[32:33], v[213:214], v[38:39]
	s_delay_alu instid0(VALU_DEP_2)
	v_add_f64_e32 v[8:9], v[8:9], v[16:17]
	scratch_load_b64 v[16:17], off, off offset:188 th:TH_LOAD_LU ; 8-byte Folded Reload
	v_add_f64_e32 v[10:11], v[10:11], v[32:33]
	v_add_f64_e32 v[8:9], v[28:29], v[8:9]
	scratch_load_b64 v[28:29], off, off offset:196 th:TH_LOAD_LU ; 8-byte Folded Reload
	v_add_f64_e32 v[10:11], v[30:31], v[10:11]
	s_wait_loadcnt 0x1
	v_add_f64_e32 v[16:17], v[16:17], v[158:159]
	s_wait_loadcnt 0x0
	v_add_f64_e32 v[28:29], v[28:29], v[160:161]
	s_delay_alu instid0(VALU_DEP_2) | instskip(NEXT) | instid1(VALU_DEP_2)
	v_add_f64_e32 v[16:17], v[16:17], v[162:163]
	v_add_f64_e32 v[28:29], v[28:29], v[164:165]
	s_delay_alu instid0(VALU_DEP_2) | instskip(NEXT) | instid1(VALU_DEP_2)
	v_add_f64_e32 v[16:17], v[16:17], v[166:167]
	;; [unrolled: 3-line block ×10, first 2 shown]
	v_add_f64_e32 v[160:161], v[28:29], v[198:199]
	ds_store_b128 v19, v[4:7] offset:1248
	ds_store_b128 v19, v[231:234] offset:1872
	;; [unrolled: 1-line block ×12, first 2 shown]
	ds_store_b128 v19, v[158:161]
	global_wb scope:SCOPE_SE
	s_wait_storecnt_dscnt 0x0
	s_barrier_signal -1
	s_barrier_wait -1
	global_inv scope:SCOPE_SE
	global_load_b128 v[0:3], v[156:157], off offset:8112
	ds_load_b128 v[4:7], v19
	ds_load_b128 v[8:11], v19 offset:624
	s_wait_loadcnt_dscnt 0x1
	v_mul_f64_e32 v[12:13], v[6:7], v[2:3]
	v_mul_f64_e32 v[2:3], v[4:5], v[2:3]
	s_delay_alu instid0(VALU_DEP_2) | instskip(NEXT) | instid1(VALU_DEP_2)
	v_fma_f64 v[148:149], v[4:5], v[0:1], -v[12:13]
	v_fma_f64 v[150:151], v[6:7], v[0:1], v[2:3]
	s_clause 0x1
	global_load_b128 v[0:3], v255, s[8:9] offset:624
	global_load_b128 v[4:7], v255, s[8:9] offset:1248
	s_wait_loadcnt_dscnt 0x100
	v_mul_f64_e32 v[12:13], v[10:11], v[2:3]
	v_mul_f64_e32 v[2:3], v[8:9], v[2:3]
	s_delay_alu instid0(VALU_DEP_2) | instskip(NEXT) | instid1(VALU_DEP_2)
	v_fma_f64 v[152:153], v[8:9], v[0:1], -v[12:13]
	v_fma_f64 v[154:155], v[10:11], v[0:1], v[2:3]
	ds_load_b128 v[0:3], v19 offset:1248
	ds_load_b128 v[8:11], v19 offset:1872
	s_wait_loadcnt_dscnt 0x1
	v_mul_f64_e32 v[12:13], v[2:3], v[6:7]
	v_mul_f64_e32 v[6:7], v[0:1], v[6:7]
	s_delay_alu instid0(VALU_DEP_2) | instskip(NEXT) | instid1(VALU_DEP_2)
	v_fma_f64 v[0:1], v[0:1], v[4:5], -v[12:13]
	v_fma_f64 v[2:3], v[2:3], v[4:5], v[6:7]
	s_clause 0x1
	global_load_b128 v[4:7], v255, s[8:9] offset:1872
	global_load_b128 v[12:15], v255, s[8:9] offset:2496
	s_wait_loadcnt_dscnt 0x100
	v_mul_f64_e32 v[16:17], v[10:11], v[6:7]
	v_mul_f64_e32 v[20:21], v[8:9], v[6:7]
	s_delay_alu instid0(VALU_DEP_2) | instskip(NEXT) | instid1(VALU_DEP_2)
	v_fma_f64 v[6:7], v[8:9], v[4:5], -v[16:17]
	v_fma_f64 v[8:9], v[10:11], v[4:5], v[20:21]
	ds_load_b128 v[20:23], v19 offset:2496
	;; [unrolled: 17-line block ×4, first 2 shown]
	ds_load_b128 v[164:167], v19 offset:5616
	s_wait_loadcnt_dscnt 0x1
	v_mul_f64_e32 v[4:5], v[22:23], v[162:163]
	v_mul_f64_e32 v[28:29], v[20:21], v[162:163]
	s_delay_alu instid0(VALU_DEP_2) | instskip(NEXT) | instid1(VALU_DEP_2)
	v_fma_f64 v[20:21], v[20:21], v[160:161], -v[4:5]
	v_fma_f64 v[22:23], v[22:23], v[160:161], v[28:29]
	s_clause 0x1
	global_load_b128 v[160:163], v255, s[8:9] offset:5616
	global_load_b128 v[168:171], v255, s[8:9] offset:6240
	ds_load_b128 v[172:175], v19 offset:6240
	ds_load_b128 v[176:179], v19 offset:6864
	s_wait_loadcnt_dscnt 0x102
	v_mul_f64_e32 v[4:5], v[166:167], v[162:163]
	v_mul_f64_e32 v[28:29], v[164:165], v[162:163]
	s_delay_alu instid0(VALU_DEP_2) | instskip(SKIP_2) | instid1(VALU_DEP_3)
	v_fma_f64 v[162:163], v[164:165], v[160:161], -v[4:5]
	s_wait_loadcnt_dscnt 0x1
	v_mul_f64_e32 v[4:5], v[174:175], v[170:171]
	v_fma_f64 v[164:165], v[166:167], v[160:161], v[28:29]
	v_mul_f64_e32 v[28:29], v[172:173], v[170:171]
	s_delay_alu instid0(VALU_DEP_3)
	v_fma_f64 v[166:167], v[172:173], v[168:169], -v[4:5]
	s_clause 0x1
	global_load_b128 v[170:173], v255, s[8:9] offset:6864
	global_load_b128 v[180:183], v255, s[8:9] offset:7488
	v_fma_f64 v[168:169], v[174:175], v[168:169], v[28:29]
	s_wait_loadcnt_dscnt 0x100
	v_mul_f64_e32 v[4:5], v[178:179], v[172:173]
	v_mul_f64_e32 v[28:29], v[176:177], v[172:173]
	s_delay_alu instid0(VALU_DEP_2) | instskip(NEXT) | instid1(VALU_DEP_2)
	v_fma_f64 v[172:173], v[176:177], v[170:171], -v[4:5]
	v_fma_f64 v[174:175], v[178:179], v[170:171], v[28:29]
	ds_load_b128 v[176:179], v19 offset:7488
	s_wait_loadcnt_dscnt 0x0
	v_mul_f64_e32 v[4:5], v[178:179], v[182:183]
	v_mul_f64_e32 v[28:29], v[176:177], v[182:183]
	s_delay_alu instid0(VALU_DEP_2) | instskip(NEXT) | instid1(VALU_DEP_2)
	v_fma_f64 v[176:177], v[176:177], v[180:181], -v[4:5]
	v_fma_f64 v[178:179], v[178:179], v[180:181], v[28:29]
	ds_store_b128 v19, v[148:151]
	ds_store_b128 v19, v[152:155] offset:624
	ds_store_b128 v19, v[0:3] offset:1248
	;; [unrolled: 1-line block ×12, first 2 shown]
	global_wb scope:SCOPE_SE
	s_wait_dscnt 0x0
	s_barrier_signal -1
	s_barrier_wait -1
	global_inv scope:SCOPE_SE
	ds_load_b128 v[148:151], v19
	ds_load_b128 v[152:155], v19 offset:624
	ds_load_b128 v[156:159], v19 offset:1248
	;; [unrolled: 1-line block ×9, first 2 shown]
	s_wait_dscnt 0x8
	v_add_f64_e32 v[0:1], v[148:149], v[152:153]
	v_add_f64_e32 v[2:3], v[150:151], v[154:155]
	s_wait_dscnt 0x2
	v_add_f64_e32 v[192:193], v[174:175], v[178:179]
	s_wait_dscnt 0x0
	v_add_f64_e32 v[196:197], v[166:167], v[14:15]
	v_add_f64_e64 v[203:204], v[166:167], -v[14:15]
	v_add_f64_e64 v[194:195], v[174:175], -v[178:179]
	v_add_f64_e32 v[0:1], v[0:1], v[156:157]
	v_add_f64_e32 v[2:3], v[2:3], v[158:159]
	s_delay_alu instid0(VALU_DEP_2) | instskip(NEXT) | instid1(VALU_DEP_2)
	v_add_f64_e32 v[0:1], v[0:1], v[160:161]
	v_add_f64_e32 v[2:3], v[2:3], v[162:163]
	s_delay_alu instid0(VALU_DEP_2) | instskip(NEXT) | instid1(VALU_DEP_2)
	;; [unrolled: 3-line block ×4, first 2 shown]
	v_add_f64_e32 v[4:5], v[0:1], v[172:173]
	v_add_f64_e32 v[6:7], v[2:3], v[174:175]
	v_add_f64_e32 v[0:1], v[172:173], v[176:177]
	v_add_f64_e64 v[2:3], v[172:173], -v[176:177]
	v_add_f64_e32 v[172:173], v[168:169], v[8:9]
	v_add_f64_e64 v[168:169], v[168:169], -v[8:9]
	v_add_f64_e32 v[16:17], v[4:5], v[176:177]
	v_add_f64_e32 v[20:21], v[6:7], v[178:179]
	;; [unrolled: 1-line block ×3, first 2 shown]
	v_add_f64_e64 v[6:7], v[170:171], -v[10:11]
	v_add_f64_e32 v[170:171], v[164:165], v[12:13]
	v_add_f64_e64 v[164:165], v[164:165], -v[12:13]
	v_add_f64_e32 v[8:9], v[16:17], v[8:9]
	v_add_f64_e32 v[10:11], v[20:21], v[10:11]
	s_delay_alu instid0(VALU_DEP_2) | instskip(NEXT) | instid1(VALU_DEP_2)
	v_add_f64_e32 v[16:17], v[8:9], v[12:13]
	v_add_f64_e32 v[20:21], v[10:11], v[14:15]
	ds_load_b128 v[8:11], v19 offset:6240
	ds_load_b128 v[12:15], v19 offset:6864
	s_wait_dscnt 0x1
	v_add_f64_e32 v[166:167], v[160:161], v[8:9]
	v_add_f64_e32 v[205:206], v[162:163], v[10:11]
	v_add_f64_e64 v[160:161], v[160:161], -v[8:9]
	v_add_f64_e64 v[207:208], v[162:163], -v[10:11]
	s_wait_dscnt 0x0
	v_add_f64_e32 v[162:163], v[156:157], v[12:13]
	v_add_f64_e32 v[209:210], v[158:159], v[14:15]
	v_add_f64_e64 v[174:175], v[156:157], -v[12:13]
	v_add_f64_e64 v[211:212], v[158:159], -v[14:15]
	v_add_f64_e32 v[8:9], v[16:17], v[8:9]
	v_add_f64_e32 v[10:11], v[20:21], v[10:11]
	s_delay_alu instid0(VALU_DEP_2) | instskip(NEXT) | instid1(VALU_DEP_2)
	v_add_f64_e32 v[12:13], v[8:9], v[12:13]
	v_add_f64_e32 v[14:15], v[10:11], v[14:15]
	ds_load_b128 v[8:11], v19 offset:7488
	global_wb scope:SCOPE_SE
	s_wait_dscnt 0x0
	s_barrier_signal -1
	s_barrier_wait -1
	global_inv scope:SCOPE_SE
	v_add_f64_e64 v[16:17], v[154:155], -v[10:11]
	v_add_f64_e32 v[20:21], v[152:153], v[8:9]
	v_add_f64_e32 v[22:23], v[154:155], v[10:11]
	v_add_f64_e64 v[24:25], v[152:153], -v[8:9]
	v_add_f64_e32 v[152:153], v[12:13], v[8:9]
	v_add_f64_e32 v[154:155], v[14:15], v[10:11]
	v_mul_f64_e32 v[8:9], s[30:31], v[16:17]
	v_mul_f64_e32 v[10:11], s[18:19], v[16:17]
	;; [unrolled: 1-line block ×10, first 2 shown]
	v_fma_f64 v[28:29], v[20:21], s[28:29], v[8:9]
	v_fma_f64 v[8:9], v[20:21], s[28:29], -v[8:9]
	v_fma_f64 v[30:31], v[20:21], s[24:25], v[10:11]
	v_fma_f64 v[10:11], v[20:21], s[24:25], -v[10:11]
	;; [unrolled: 2-line block ×6, first 2 shown]
	v_mul_f64_e32 v[20:21], s[28:29], v[22:23]
	v_mul_f64_e32 v[22:23], s[12:13], v[22:23]
	v_fma_f64 v[182:183], v[24:25], s[42:43], v[156:157]
	v_fma_f64 v[156:157], v[24:25], s[18:19], v[156:157]
	;; [unrolled: 1-line block ×8, first 2 shown]
	v_add_f64_e32 v[176:177], v[148:149], v[8:9]
	v_add_f64_e32 v[213:214], v[148:149], v[10:11]
	v_add_f64_e32 v[32:33], v[148:149], v[32:33]
	v_add_f64_e32 v[219:220], v[148:149], v[12:13]
	v_add_f64_e32 v[34:35], v[148:149], v[34:35]
	v_add_f64_e32 v[225:226], v[148:149], v[14:15]
	v_add_f64_e32 v[36:37], v[148:149], v[36:37]
	v_add_f64_e32 v[14:15], v[148:149], v[26:27]
	v_add_f64_e32 v[10:11], v[148:149], v[38:39]
	v_mul_f64_e32 v[26:27], s[22:23], v[209:210]
	v_fma_f64 v[180:181], v[24:25], s[36:37], v[20:21]
	v_fma_f64 v[20:21], v[24:25], s[30:31], v[20:21]
	;; [unrolled: 1-line block ×4, first 2 shown]
	v_add_f64_e32 v[24:25], v[148:149], v[28:29]
	v_add_f64_e32 v[215:216], v[150:151], v[156:157]
	;; [unrolled: 1-line block ×8, first 2 shown]
	v_mul_f64_e32 v[184:185], s[14:15], v[203:204]
	v_mul_f64_e32 v[186:187], s[22:23], v[196:197]
	;; [unrolled: 1-line block ×4, first 2 shown]
	v_add_f64_e32 v[28:29], v[150:151], v[180:181]
	v_add_f64_e32 v[178:179], v[150:151], v[20:21]
	;; [unrolled: 1-line block ×5, first 2 shown]
	v_mul_f64_e32 v[148:149], s[18:19], v[211:212]
	v_add_f64_e32 v[30:31], v[150:151], v[182:183]
	v_add_f64_e32 v[198:199], v[150:151], v[22:23]
	v_mul_f64_e32 v[150:151], s[24:25], v[209:210]
	v_mul_f64_e32 v[180:181], s[20:21], v[207:208]
	v_mul_f64_e32 v[182:183], s[26:27], v[205:206]
	v_fma_f64 v[16:17], v[162:163], s[24:25], v[148:149]
	s_delay_alu instid0(VALU_DEP_4) | instskip(NEXT) | instid1(VALU_DEP_2)
	v_fma_f64 v[22:23], v[174:175], s[42:43], v[150:151]
	v_add_f64_e32 v[16:17], v[16:17], v[24:25]
	v_fma_f64 v[24:25], v[166:167], s[26:27], v[180:181]
	s_delay_alu instid0(VALU_DEP_3) | instskip(SKIP_1) | instid1(VALU_DEP_3)
	v_add_f64_e32 v[22:23], v[22:23], v[28:29]
	v_mul_f64_e32 v[28:29], s[2:3], v[194:195]
	v_add_f64_e32 v[16:17], v[24:25], v[16:17]
	v_fma_f64 v[24:25], v[160:161], s[34:35], v[182:183]
	s_delay_alu instid0(VALU_DEP_1) | instskip(SKIP_1) | instid1(VALU_DEP_1)
	v_add_f64_e32 v[22:23], v[24:25], v[22:23]
	v_fma_f64 v[24:25], v[170:171], s[22:23], v[184:185]
	v_add_f64_e32 v[16:17], v[24:25], v[16:17]
	v_fma_f64 v[24:25], v[164:165], s[40:41], v[186:187]
	s_delay_alu instid0(VALU_DEP_1) | instskip(SKIP_1) | instid1(VALU_DEP_1)
	v_add_f64_e32 v[22:23], v[24:25], v[22:23]
	v_fma_f64 v[24:25], v[172:173], s[16:17], v[188:189]
	;; [unrolled: 5-line block ×3, first 2 shown]
	v_add_f64_e32 v[156:157], v[24:25], v[16:17]
	v_mul_f64_e32 v[16:17], s[12:13], v[192:193]
	s_delay_alu instid0(VALU_DEP_1) | instskip(NEXT) | instid1(VALU_DEP_1)
	v_fma_f64 v[24:25], v[2:3], s[44:45], v[16:17]
	v_add_f64_e32 v[158:159], v[24:25], v[22:23]
	v_mul_f64_e32 v[24:25], s[14:15], v[211:212]
	s_delay_alu instid0(VALU_DEP_1) | instskip(SKIP_1) | instid1(VALU_DEP_2)
	v_fma_f64 v[22:23], v[162:163], s[22:23], v[24:25]
	v_fma_f64 v[24:25], v[162:163], s[22:23], -v[24:25]
	v_add_f64_e32 v[20:21], v[22:23], v[20:21]
	v_fma_f64 v[22:23], v[174:175], s[40:41], v[26:27]
	s_delay_alu instid0(VALU_DEP_3) | instskip(SKIP_1) | instid1(VALU_DEP_3)
	v_add_f64_e32 v[24:25], v[24:25], v[213:214]
	v_fma_f64 v[26:27], v[174:175], s[14:15], v[26:27]
	v_add_f64_e32 v[22:23], v[22:23], v[30:31]
	v_mul_f64_e32 v[30:31], s[2:3], v[207:208]
	s_delay_alu instid0(VALU_DEP_3) | instskip(NEXT) | instid1(VALU_DEP_2)
	v_add_f64_e32 v[26:27], v[26:27], v[215:216]
	v_fma_f64 v[38:39], v[166:167], s[12:13], v[30:31]
	v_fma_f64 v[30:31], v[166:167], s[12:13], -v[30:31]
	s_delay_alu instid0(VALU_DEP_2) | instskip(SKIP_1) | instid1(VALU_DEP_3)
	v_add_f64_e32 v[20:21], v[38:39], v[20:21]
	v_mul_f64_e32 v[38:39], s[12:13], v[205:206]
	v_add_f64_e32 v[24:25], v[30:31], v[24:25]
	s_delay_alu instid0(VALU_DEP_2) | instskip(SKIP_1) | instid1(VALU_DEP_2)
	v_fma_f64 v[231:232], v[160:161], s[44:45], v[38:39]
	v_fma_f64 v[30:31], v[160:161], s[2:3], v[38:39]
	v_add_f64_e32 v[22:23], v[231:232], v[22:23]
	v_mul_f64_e32 v[231:232], s[38:39], v[203:204]
	s_delay_alu instid0(VALU_DEP_3) | instskip(NEXT) | instid1(VALU_DEP_2)
	v_add_f64_e32 v[26:27], v[30:31], v[26:27]
	v_fma_f64 v[233:234], v[170:171], s[16:17], v[231:232]
	v_fma_f64 v[30:31], v[170:171], s[16:17], -v[231:232]
	v_mul_f64_e32 v[231:232], s[22:23], v[205:206]
	s_delay_alu instid0(VALU_DEP_3) | instskip(SKIP_1) | instid1(VALU_DEP_4)
	v_add_f64_e32 v[20:21], v[233:234], v[20:21]
	v_mul_f64_e32 v[233:234], s[16:17], v[196:197]
	v_add_f64_e32 v[24:25], v[30:31], v[24:25]
	s_delay_alu instid0(VALU_DEP_2) | instskip(SKIP_2) | instid1(VALU_DEP_3)
	v_fma_f64 v[235:236], v[164:165], s[10:11], v[233:234]
	v_fma_f64 v[30:31], v[164:165], s[38:39], v[233:234]
	v_mul_f64_e32 v[233:234], s[36:37], v[203:204]
	v_add_f64_e32 v[22:23], v[235:236], v[22:23]
	v_mul_f64_e32 v[235:236], s[34:35], v[6:7]
	s_delay_alu instid0(VALU_DEP_4) | instskip(NEXT) | instid1(VALU_DEP_2)
	v_add_f64_e32 v[26:27], v[30:31], v[26:27]
	v_fma_f64 v[237:238], v[172:173], s[26:27], v[235:236]
	v_fma_f64 v[30:31], v[172:173], s[26:27], -v[235:236]
	v_mul_f64_e32 v[235:236], s[28:29], v[196:197]
	s_delay_alu instid0(VALU_DEP_3) | instskip(SKIP_1) | instid1(VALU_DEP_4)
	v_add_f64_e32 v[20:21], v[237:238], v[20:21]
	v_mul_f64_e32 v[237:238], s[26:27], v[4:5]
	v_add_f64_e32 v[24:25], v[30:31], v[24:25]
	s_delay_alu instid0(VALU_DEP_2) | instskip(SKIP_2) | instid1(VALU_DEP_3)
	v_fma_f64 v[239:240], v[168:169], s[20:21], v[237:238]
	v_fma_f64 v[30:31], v[168:169], s[34:35], v[237:238]
	v_mul_f64_e32 v[237:238], s[18:19], v[6:7]
	v_add_f64_e32 v[22:23], v[239:240], v[22:23]
	v_mul_f64_e32 v[239:240], s[36:37], v[194:195]
	s_delay_alu instid0(VALU_DEP_4) | instskip(NEXT) | instid1(VALU_DEP_2)
	v_add_f64_e32 v[26:27], v[30:31], v[26:27]
	v_fma_f64 v[241:242], v[0:1], s[28:29], v[239:240]
	v_fma_f64 v[30:31], v[0:1], s[28:29], -v[239:240]
	v_mul_f64_e32 v[239:240], s[24:25], v[4:5]
	s_delay_alu instid0(VALU_DEP_3) | instskip(SKIP_1) | instid1(VALU_DEP_4)
	v_add_f64_e32 v[20:21], v[241:242], v[20:21]
	v_mul_f64_e32 v[241:242], s[28:29], v[192:193]
	v_add_f64_e32 v[24:25], v[30:31], v[24:25]
	v_mul_f64_e32 v[30:31], s[2:3], v[211:212]
	s_delay_alu instid0(VALU_DEP_3) | instskip(SKIP_2) | instid1(VALU_DEP_3)
	v_fma_f64 v[38:39], v[2:3], s[36:37], v[241:242]
	v_fma_f64 v[243:244], v[2:3], s[30:31], v[241:242]
	v_mul_f64_e32 v[241:242], s[10:11], v[194:195]
	v_add_f64_e32 v[26:27], v[38:39], v[26:27]
	v_fma_f64 v[38:39], v[162:163], s[12:13], v[30:31]
	v_fma_f64 v[30:31], v[162:163], s[12:13], -v[30:31]
	v_add_f64_e32 v[22:23], v[243:244], v[22:23]
	s_delay_alu instid0(VALU_DEP_3) | instskip(SKIP_1) | instid1(VALU_DEP_4)
	v_add_f64_e32 v[32:33], v[38:39], v[32:33]
	v_mul_f64_e32 v[38:39], s[12:13], v[209:210]
	v_add_f64_e32 v[30:31], v[30:31], v[219:220]
	s_delay_alu instid0(VALU_DEP_2) | instskip(SKIP_1) | instid1(VALU_DEP_2)
	v_fma_f64 v[213:214], v[174:175], s[44:45], v[38:39]
	v_fma_f64 v[38:39], v[174:175], s[2:3], v[38:39]
	v_add_f64_e32 v[213:214], v[213:214], v[217:218]
	v_mul_f64_e32 v[217:218], s[40:41], v[207:208]
	s_delay_alu instid0(VALU_DEP_3) | instskip(NEXT) | instid1(VALU_DEP_2)
	v_add_f64_e32 v[38:39], v[38:39], v[221:222]
	v_fma_f64 v[215:216], v[166:167], s[22:23], v[217:218]
	v_fma_f64 v[217:218], v[166:167], s[22:23], -v[217:218]
	s_delay_alu instid0(VALU_DEP_2) | instskip(SKIP_1) | instid1(VALU_DEP_3)
	v_add_f64_e32 v[32:33], v[215:216], v[32:33]
	v_fma_f64 v[215:216], v[160:161], s[14:15], v[231:232]
	v_add_f64_e32 v[30:31], v[217:218], v[30:31]
	v_fma_f64 v[217:218], v[160:161], s[40:41], v[231:232]
	v_mul_f64_e32 v[231:232], s[36:37], v[207:208]
	s_delay_alu instid0(VALU_DEP_4) | instskip(SKIP_1) | instid1(VALU_DEP_4)
	v_add_f64_e32 v[213:214], v[215:216], v[213:214]
	v_fma_f64 v[215:216], v[170:171], s[28:29], v[233:234]
	v_add_f64_e32 v[38:39], v[217:218], v[38:39]
	v_fma_f64 v[217:218], v[170:171], s[28:29], -v[233:234]
	v_fma_f64 v[221:222], v[166:167], s[28:29], v[231:232]
	v_mul_f64_e32 v[233:234], s[28:29], v[205:206]
	v_add_f64_e32 v[32:33], v[215:216], v[32:33]
	v_fma_f64 v[215:216], v[164:165], s[30:31], v[235:236]
	v_add_f64_e32 v[30:31], v[217:218], v[30:31]
	v_fma_f64 v[217:218], v[164:165], s[36:37], v[235:236]
	v_mul_f64_e32 v[235:236], s[20:21], v[203:204]
	s_delay_alu instid0(VALU_DEP_4) | instskip(SKIP_1) | instid1(VALU_DEP_4)
	v_add_f64_e32 v[213:214], v[215:216], v[213:214]
	v_fma_f64 v[215:216], v[172:173], s[24:25], v[237:238]
	v_add_f64_e32 v[38:39], v[217:218], v[38:39]
	v_fma_f64 v[217:218], v[172:173], s[24:25], -v[237:238]
	v_mul_f64_e32 v[237:238], s[26:27], v[196:197]
	s_delay_alu instid0(VALU_DEP_4) | instskip(SKIP_1) | instid1(VALU_DEP_4)
	v_add_f64_e32 v[32:33], v[215:216], v[32:33]
	v_fma_f64 v[215:216], v[168:169], s[42:43], v[239:240]
	v_add_f64_e32 v[30:31], v[217:218], v[30:31]
	v_fma_f64 v[217:218], v[168:169], s[18:19], v[239:240]
	v_mul_f64_e32 v[239:240], s[44:45], v[6:7]
	s_delay_alu instid0(VALU_DEP_4) | instskip(SKIP_1) | instid1(VALU_DEP_4)
	v_add_f64_e32 v[215:216], v[215:216], v[213:214]
	v_fma_f64 v[213:214], v[0:1], s[16:17], v[241:242]
	v_add_f64_e32 v[38:39], v[217:218], v[38:39]
	v_fma_f64 v[217:218], v[0:1], s[16:17], -v[241:242]
	v_mul_f64_e32 v[241:242], s[12:13], v[4:5]
	s_delay_alu instid0(VALU_DEP_4) | instskip(SKIP_1) | instid1(VALU_DEP_4)
	v_add_f64_e32 v[213:214], v[213:214], v[32:33]
	v_mul_f64_e32 v[32:33], s[16:17], v[192:193]
	v_add_f64_e32 v[217:218], v[217:218], v[30:31]
	v_mul_f64_e32 v[30:31], s[38:39], v[211:212]
	s_delay_alu instid0(VALU_DEP_3) | instskip(SKIP_1) | instid1(VALU_DEP_2)
	v_fma_f64 v[243:244], v[2:3], s[38:39], v[32:33]
	v_fma_f64 v[32:33], v[2:3], s[10:11], v[32:33]
	v_add_f64_e32 v[215:216], v[243:244], v[215:216]
	s_delay_alu instid0(VALU_DEP_2) | instskip(SKIP_3) | instid1(VALU_DEP_3)
	v_add_f64_e32 v[219:220], v[32:33], v[38:39]
	v_fma_f64 v[32:33], v[162:163], s[16:17], v[30:31]
	v_mul_f64_e32 v[243:244], s[42:43], v[194:195]
	v_fma_f64 v[30:31], v[162:163], s[16:17], -v[30:31]
	v_add_f64_e32 v[32:33], v[32:33], v[34:35]
	v_mul_f64_e32 v[34:35], s[16:17], v[209:210]
	s_delay_alu instid0(VALU_DEP_3) | instskip(NEXT) | instid1(VALU_DEP_3)
	v_add_f64_e32 v[30:31], v[30:31], v[225:226]
	v_add_f64_e32 v[32:33], v[221:222], v[32:33]
	s_delay_alu instid0(VALU_DEP_3) | instskip(SKIP_2) | instid1(VALU_DEP_3)
	v_fma_f64 v[38:39], v[174:175], s[10:11], v[34:35]
	v_fma_f64 v[221:222], v[160:161], s[30:31], v[233:234]
	;; [unrolled: 1-line block ×3, first 2 shown]
	v_add_f64_e32 v[38:39], v[38:39], v[223:224]
	s_delay_alu instid0(VALU_DEP_2) | instskip(NEXT) | instid1(VALU_DEP_2)
	v_add_f64_e32 v[34:35], v[34:35], v[227:228]
	v_add_f64_e32 v[38:39], v[221:222], v[38:39]
	v_fma_f64 v[221:222], v[170:171], s[26:27], v[235:236]
	s_delay_alu instid0(VALU_DEP_1) | instskip(SKIP_1) | instid1(VALU_DEP_1)
	v_add_f64_e32 v[32:33], v[221:222], v[32:33]
	v_fma_f64 v[221:222], v[164:165], s[34:35], v[237:238]
	v_add_f64_e32 v[38:39], v[221:222], v[38:39]
	v_fma_f64 v[221:222], v[172:173], s[12:13], v[239:240]
	s_delay_alu instid0(VALU_DEP_1) | instskip(SKIP_1) | instid1(VALU_DEP_1)
	v_add_f64_e32 v[32:33], v[221:222], v[32:33]
	v_fma_f64 v[221:222], v[168:169], s[2:3], v[241:242]
	v_add_f64_e32 v[38:39], v[221:222], v[38:39]
	v_fma_f64 v[221:222], v[0:1], s[24:25], v[243:244]
	s_delay_alu instid0(VALU_DEP_1) | instskip(SKIP_1) | instid1(VALU_DEP_1)
	v_add_f64_e32 v[221:222], v[221:222], v[32:33]
	v_mul_f64_e32 v[32:33], s[24:25], v[192:193]
	v_fma_f64 v[223:224], v[2:3], s[18:19], v[32:33]
	v_fma_f64 v[32:33], v[2:3], s[42:43], v[32:33]
	s_delay_alu instid0(VALU_DEP_2) | instskip(SKIP_1) | instid1(VALU_DEP_1)
	v_add_f64_e32 v[223:224], v[223:224], v[38:39]
	v_fma_f64 v[38:39], v[166:167], s[28:29], -v[231:232]
	v_add_f64_e32 v[30:31], v[38:39], v[30:31]
	v_fma_f64 v[38:39], v[160:161], s[36:37], v[233:234]
	v_mul_f64_e32 v[233:234], s[24:25], v[205:206]
	s_delay_alu instid0(VALU_DEP_2) | instskip(SKIP_2) | instid1(VALU_DEP_2)
	v_add_f64_e32 v[34:35], v[38:39], v[34:35]
	v_fma_f64 v[38:39], v[170:171], s[26:27], -v[235:236]
	v_mul_f64_e32 v[235:236], s[44:45], v[203:204]
	v_add_f64_e32 v[30:31], v[38:39], v[30:31]
	v_fma_f64 v[38:39], v[164:165], s[20:21], v[237:238]
	v_mul_f64_e32 v[237:238], s[12:13], v[196:197]
	v_mul_f64_e32 v[196:197], s[24:25], v[196:197]
	s_delay_alu instid0(VALU_DEP_3) | instskip(SKIP_2) | instid1(VALU_DEP_2)
	v_add_f64_e32 v[34:35], v[38:39], v[34:35]
	v_fma_f64 v[38:39], v[172:173], s[12:13], -v[239:240]
	v_mul_f64_e32 v[239:240], s[36:37], v[6:7]
	v_add_f64_e32 v[30:31], v[38:39], v[30:31]
	v_fma_f64 v[38:39], v[168:169], s[44:45], v[241:242]
	v_mul_f64_e32 v[241:242], s[28:29], v[4:5]
	s_delay_alu instid0(VALU_DEP_2) | instskip(SKIP_3) | instid1(VALU_DEP_4)
	v_add_f64_e32 v[34:35], v[38:39], v[34:35]
	v_fma_f64 v[38:39], v[0:1], s[24:25], -v[243:244]
	v_mul_f64_e32 v[243:244], s[14:15], v[194:195]
	v_mul_f64_e32 v[194:195], s[34:35], v[194:195]
	v_add_f64_e32 v[227:228], v[32:33], v[34:35]
	s_delay_alu instid0(VALU_DEP_4) | instskip(SKIP_3) | instid1(VALU_DEP_3)
	v_add_f64_e32 v[225:226], v[38:39], v[30:31]
	v_mul_f64_e32 v[30:31], s[34:35], v[211:212]
	v_mul_f64_e32 v[34:35], s[26:27], v[209:210]
	;; [unrolled: 1-line block ×3, first 2 shown]
	v_fma_f64 v[32:33], v[162:163], s[26:27], v[30:31]
	v_fma_f64 v[30:31], v[162:163], s[26:27], -v[30:31]
	s_delay_alu instid0(VALU_DEP_2) | instskip(SKIP_1) | instid1(VALU_DEP_3)
	v_add_f64_e32 v[32:33], v[32:33], v[36:37]
	v_fma_f64 v[36:37], v[174:175], s[20:21], v[34:35]
	v_add_f64_e32 v[14:15], v[30:31], v[14:15]
	v_fma_f64 v[30:31], v[174:175], s[34:35], v[34:35]
	s_delay_alu instid0(VALU_DEP_3) | instskip(SKIP_1) | instid1(VALU_DEP_3)
	v_add_f64_e32 v[36:37], v[36:37], v[229:230]
	v_fma_f64 v[229:230], v[166:167], s[24:25], v[38:39]
	v_add_f64_e32 v[12:13], v[30:31], v[12:13]
	v_fma_f64 v[30:31], v[166:167], s[24:25], -v[38:39]
	s_delay_alu instid0(VALU_DEP_3) | instskip(SKIP_1) | instid1(VALU_DEP_3)
	v_add_f64_e32 v[32:33], v[229:230], v[32:33]
	v_fma_f64 v[229:230], v[160:161], s[42:43], v[233:234]
	v_add_f64_e32 v[14:15], v[30:31], v[14:15]
	v_fma_f64 v[30:31], v[160:161], s[18:19], v[233:234]
	s_delay_alu instid0(VALU_DEP_3) | instskip(SKIP_1) | instid1(VALU_DEP_3)
	v_add_f64_e32 v[36:37], v[229:230], v[36:37]
	v_fma_f64 v[229:230], v[170:171], s[12:13], v[235:236]
	v_add_f64_e32 v[12:13], v[30:31], v[12:13]
	v_fma_f64 v[30:31], v[170:171], s[12:13], -v[235:236]
	s_delay_alu instid0(VALU_DEP_3) | instskip(SKIP_1) | instid1(VALU_DEP_3)
	;; [unrolled: 10-line block ×4, first 2 shown]
	v_add_f64_e32 v[229:230], v[229:230], v[32:33]
	v_mul_f64_e32 v[32:33], s[22:23], v[192:193]
	v_add_f64_e32 v[12:13], v[12:13], v[14:15]
	v_mul_f64_e32 v[192:193], s[26:27], v[192:193]
	s_delay_alu instid0(VALU_DEP_3) | instskip(SKIP_1) | instid1(VALU_DEP_2)
	v_fma_f64 v[231:232], v[2:3], s[40:41], v[32:33]
	v_fma_f64 v[32:33], v[2:3], s[14:15], v[32:33]
	v_add_f64_e32 v[231:232], v[231:232], v[36:37]
	s_delay_alu instid0(VALU_DEP_2) | instskip(SKIP_1) | instid1(VALU_DEP_1)
	v_add_f64_e32 v[14:15], v[32:33], v[30:31]
	v_mul_f64_e32 v[30:31], s[36:37], v[211:212]
	v_fma_f64 v[32:33], v[162:163], s[28:29], v[30:31]
	s_delay_alu instid0(VALU_DEP_1) | instskip(SKIP_1) | instid1(VALU_DEP_1)
	v_add_f64_e32 v[10:11], v[32:33], v[10:11]
	v_mul_f64_e32 v[32:33], s[28:29], v[209:210]
	v_fma_f64 v[34:35], v[174:175], s[30:31], v[32:33]
	s_delay_alu instid0(VALU_DEP_1) | instskip(SKIP_1) | instid1(VALU_DEP_1)
	;; [unrolled: 4-line block ×5, first 2 shown]
	v_add_f64_e32 v[10:11], v[203:204], v[10:11]
	v_fma_f64 v[203:204], v[164:165], s[18:19], v[196:197]
	v_add_f64_e32 v[8:9], v[203:204], v[8:9]
	v_mul_f64_e32 v[203:204], s[14:15], v[6:7]
	s_delay_alu instid0(VALU_DEP_1) | instskip(NEXT) | instid1(VALU_DEP_1)
	v_fma_f64 v[6:7], v[172:173], s[22:23], v[203:204]
	v_add_f64_e32 v[6:7], v[6:7], v[10:11]
	v_mul_f64_e32 v[10:11], s[22:23], v[4:5]
	s_delay_alu instid0(VALU_DEP_1) | instskip(SKIP_1) | instid1(VALU_DEP_2)
	v_fma_f64 v[4:5], v[168:169], s[40:41], v[10:11]
	v_fma_f64 v[10:11], v[168:169], s[14:15], v[10:11]
	v_add_f64_e32 v[8:9], v[4:5], v[8:9]
	v_fma_f64 v[4:5], v[0:1], s[26:27], v[194:195]
	s_delay_alu instid0(VALU_DEP_1) | instskip(SKIP_1) | instid1(VALU_DEP_1)
	v_add_f64_e32 v[4:5], v[4:5], v[6:7]
	v_fma_f64 v[6:7], v[2:3], s[20:21], v[192:193]
	v_add_f64_e32 v[6:7], v[6:7], v[8:9]
	v_fma_f64 v[8:9], v[162:163], s[28:29], -v[30:31]
	v_fma_f64 v[30:31], v[174:175], s[36:37], v[32:33]
	v_fma_f64 v[32:33], v[166:167], s[16:17], -v[34:35]
	v_fma_f64 v[34:35], v[166:167], s[26:27], -v[180:181]
	s_delay_alu instid0(VALU_DEP_4) | instskip(NEXT) | instid1(VALU_DEP_4)
	v_add_f64_e32 v[8:9], v[8:9], v[201:202]
	v_add_f64_e32 v[30:31], v[30:31], v[198:199]
	s_delay_alu instid0(VALU_DEP_2) | instskip(SKIP_2) | instid1(VALU_DEP_2)
	v_add_f64_e32 v[8:9], v[32:33], v[8:9]
	v_fma_f64 v[32:33], v[160:161], s[10:11], v[36:37]
	v_fma_f64 v[36:37], v[160:161], s[20:21], v[182:183]
	v_add_f64_e32 v[30:31], v[32:33], v[30:31]
	v_fma_f64 v[32:33], v[170:171], s[24:25], -v[38:39]
	v_fma_f64 v[38:39], v[170:171], s[22:23], -v[184:185]
	s_delay_alu instid0(VALU_DEP_2) | instskip(SKIP_1) | instid1(VALU_DEP_1)
	v_add_f64_e32 v[8:9], v[32:33], v[8:9]
	v_fma_f64 v[32:33], v[164:165], s[42:43], v[196:197]
	v_add_f64_e32 v[30:31], v[32:33], v[30:31]
	v_fma_f64 v[32:33], v[172:173], s[22:23], -v[203:204]
	s_delay_alu instid0(VALU_DEP_2) | instskip(NEXT) | instid1(VALU_DEP_2)
	v_add_f64_e32 v[10:11], v[10:11], v[30:31]
	v_add_f64_e32 v[8:9], v[32:33], v[8:9]
	v_fma_f64 v[30:31], v[0:1], s[26:27], -v[194:195]
	v_fma_f64 v[32:33], v[2:3], s[34:35], v[192:193]
	v_fma_f64 v[0:1], v[0:1], s[12:13], -v[28:29]
	v_fma_f64 v[2:3], v[2:3], s[2:3], v[16:17]
	s_delay_alu instid0(VALU_DEP_4) | instskip(NEXT) | instid1(VALU_DEP_4)
	v_add_f64_e32 v[8:9], v[30:31], v[8:9]
	v_add_f64_e32 v[10:11], v[32:33], v[10:11]
	v_fma_f64 v[30:31], v[162:163], s[24:25], -v[148:149]
	v_fma_f64 v[32:33], v[174:175], s[18:19], v[150:151]
	v_fma_f64 v[148:149], v[164:165], s[14:15], v[186:187]
	s_delay_alu instid0(VALU_DEP_3) | instskip(NEXT) | instid1(VALU_DEP_3)
	v_add_f64_e32 v[30:31], v[30:31], v[176:177]
	v_add_f64_e32 v[32:33], v[32:33], v[178:179]
	s_delay_alu instid0(VALU_DEP_2) | instskip(NEXT) | instid1(VALU_DEP_2)
	v_add_f64_e32 v[30:31], v[34:35], v[30:31]
	v_add_f64_e32 v[32:33], v[36:37], v[32:33]
	v_fma_f64 v[34:35], v[172:173], s[16:17], -v[188:189]
	v_fma_f64 v[36:37], v[168:169], s[10:11], v[190:191]
	s_delay_alu instid0(VALU_DEP_4) | instskip(NEXT) | instid1(VALU_DEP_4)
	v_add_f64_e32 v[30:31], v[38:39], v[30:31]
	v_add_f64_e32 v[32:33], v[148:149], v[32:33]
	s_delay_alu instid0(VALU_DEP_2) | instskip(NEXT) | instid1(VALU_DEP_2)
	v_add_f64_e32 v[16:17], v[34:35], v[30:31]
	v_add_f64_e32 v[28:29], v[36:37], v[32:33]
	s_delay_alu instid0(VALU_DEP_2) | instskip(NEXT) | instid1(VALU_DEP_2)
	v_add_f64_e32 v[148:149], v[0:1], v[16:17]
	v_add_f64_e32 v[150:151], v[2:3], v[28:29]
	ds_store_b128 v18, v[20:23] offset:32
	ds_store_b128 v18, v[213:216] offset:48
	;; [unrolled: 1-line block ×11, first 2 shown]
	ds_store_b128 v18, v[152:155]
	ds_store_b128 v18, v[148:151] offset:192
	global_wb scope:SCOPE_SE
	s_wait_dscnt 0x0
	s_barrier_signal -1
	s_barrier_wait -1
	global_inv scope:SCOPE_SE
	ds_load_b128 v[152:155], v19
	ds_load_b128 v[156:159], v19 offset:624
	ds_load_b128 v[172:175], v19 offset:2704
	;; [unrolled: 1-line block ×11, first 2 shown]
	s_and_saveexec_b32 s2, vcc_lo
	s_cbranch_execz .LBB0_7
; %bb.6:
	ds_load_b128 v[148:151], v19 offset:2496
	ds_load_b128 v[108:111], v19 offset:5200
	;; [unrolled: 1-line block ×3, first 2 shown]
.LBB0_7:
	s_wait_alu 0xfffe
	s_or_b32 exec_lo, exec_lo, s2
	s_wait_dscnt 0x9
	v_mul_f64_e32 v[0:1], v[90:91], v[174:175]
	s_wait_dscnt 0x7
	v_mul_f64_e32 v[2:3], v[78:79], v[182:183]
	v_mul_f64_e32 v[12:13], v[98:99], v[168:169]
	s_wait_dscnt 0x6
	v_mul_f64_e32 v[14:15], v[94:95], v[176:177]
	s_wait_dscnt 0x3
	v_mul_f64_e32 v[22:23], v[106:107], v[188:189]
	s_wait_dscnt 0x1
	v_mul_f64_e32 v[24:25], v[102:103], v[196:197]
	v_mul_f64_e32 v[4:5], v[90:91], v[172:173]
	;; [unrolled: 1-line block ×6, first 2 shown]
	s_wait_dscnt 0x0
	v_mul_f64_e32 v[28:29], v[82:83], v[194:195]
	v_mul_f64_e32 v[32:33], v[82:83], v[192:193]
	;; [unrolled: 1-line block ×5, first 2 shown]
	s_mov_b32 s2, 0xe8584caa
	s_mov_b32 s3, 0xbfebb67a
	;; [unrolled: 1-line block ×3, first 2 shown]
	s_wait_alu 0xfffe
	s_mov_b32 s8, s2
	global_wb scope:SCOPE_SE
	s_barrier_signal -1
	s_barrier_wait -1
	global_inv scope:SCOPE_SE
	v_fma_f64 v[0:1], v[88:89], v[172:173], v[0:1]
	v_fma_f64 v[2:3], v[76:77], v[180:181], v[2:3]
	v_fma_f64 v[12:13], v[96:97], v[170:171], -v[12:13]
	v_fma_f64 v[14:15], v[92:93], v[178:179], -v[14:15]
	;; [unrolled: 1-line block ×6, first 2 shown]
	v_fma_f64 v[8:9], v[96:97], v[168:169], v[8:9]
	v_fma_f64 v[16:17], v[104:105], v[188:189], v[16:17]
	;; [unrolled: 1-line block ×4, first 2 shown]
	v_fma_f64 v[32:33], v[80:81], v[194:195], -v[32:33]
	v_fma_f64 v[10:11], v[92:93], v[176:177], v[10:11]
	v_fma_f64 v[26:27], v[84:85], v[184:185], v[26:27]
	v_fma_f64 v[30:31], v[84:85], v[186:187], -v[30:31]
	v_add_f64_e32 v[86:87], v[152:153], v[0:1]
	v_add_f64_e32 v[34:35], v[0:1], v[2:3]
	;; [unrolled: 1-line block ×4, first 2 shown]
	v_add_f64_e64 v[102:103], v[0:1], -v[2:3]
	v_add_f64_e32 v[80:81], v[22:23], v[24:25]
	v_add_f64_e32 v[96:97], v[162:163], v[22:23]
	;; [unrolled: 1-line block ×3, first 2 shown]
	v_add_f64_e64 v[88:89], v[4:5], -v[6:7]
	v_add_f64_e32 v[4:5], v[154:155], v[4:5]
	v_add_f64_e32 v[78:79], v[16:17], v[20:21]
	;; [unrolled: 1-line block ×4, first 2 shown]
	v_add_f64_e64 v[16:17], v[16:17], -v[20:21]
	v_add_f64_e32 v[38:39], v[8:9], v[10:11]
	v_add_f64_e64 v[106:107], v[8:9], -v[10:11]
	v_add_f64_e32 v[82:83], v[26:27], v[28:29]
	v_add_f64_e32 v[98:99], v[164:165], v[26:27]
	v_add_f64_e64 v[104:105], v[12:13], -v[14:15]
	v_add_f64_e32 v[84:85], v[30:31], v[32:33]
	;; [unrolled: 3-line block ×3, first 2 shown]
	v_fma_f64 v[34:35], v[34:35], -0.5, v[152:153]
	v_fma_f64 v[152:153], v[76:77], -0.5, v[158:159]
	;; [unrolled: 1-line block ×3, first 2 shown]
	v_add_f64_e64 v[162:163], v[26:27], -v[28:29]
	v_fma_f64 v[36:37], v[36:37], -0.5, v[154:155]
	v_add_f64_e64 v[154:155], v[22:23], -v[24:25]
	v_add_f64_e32 v[2:3], v[4:5], v[6:7]
	v_add_f64_e32 v[6:7], v[92:93], v[14:15]
	;; [unrolled: 1-line block ×5, first 2 shown]
	v_fma_f64 v[38:39], v[38:39], -0.5, v[156:157]
	v_fma_f64 v[156:157], v[78:79], -0.5, v[160:161]
	;; [unrolled: 1-line block ×3, first 2 shown]
	v_add_f64_e32 v[12:13], v[98:99], v[28:29]
	v_fma_f64 v[164:165], v[84:85], -0.5, v[166:167]
	v_add_f64_e32 v[14:15], v[100:101], v[32:33]
	v_fma_f64 v[20:21], v[88:89], s[2:3], v[34:35]
	s_wait_alu 0xfffe
	v_fma_f64 v[24:25], v[88:89], s[8:9], v[34:35]
	v_fma_f64 v[78:79], v[106:107], s[8:9], v[152:153]
	;; [unrolled: 1-line block ×5, first 2 shown]
	scratch_load_b32 v16, off, off offset:184 th:TH_LOAD_LU ; 4-byte Folded Reload
	v_fma_f64 v[22:23], v[102:103], s[8:9], v[36:37]
	v_fma_f64 v[26:27], v[102:103], s[2:3], v[36:37]
	s_wait_loadcnt 0x0
	ds_store_b128 v16, v[0:3]
	ds_store_b128 v16, v[20:23] offset:208
	ds_store_b128 v16, v[24:27] offset:416
	scratch_load_b32 v0, off, off offset:180 th:TH_LOAD_LU ; 4-byte Folded Reload
	v_fma_f64 v[76:77], v[104:105], s[2:3], v[38:39]
	v_fma_f64 v[80:81], v[104:105], s[8:9], v[38:39]
	;; [unrolled: 1-line block ×8, first 2 shown]
	s_wait_loadcnt 0x0
	ds_store_b128 v0, v[4:7]
	ds_store_b128 v0, v[76:79] offset:208
	ds_store_b128 v0, v[80:83] offset:416
	scratch_load_b32 v0, off, off offset:176 th:TH_LOAD_LU ; 4-byte Folded Reload
	s_wait_loadcnt 0x0
	ds_store_b128 v0, v[8:11]
	ds_store_b128 v0, v[84:87] offset:208
	ds_store_b128 v0, v[88:91] offset:416
	scratch_load_b32 v0, off, off offset:172 th:TH_LOAD_LU ; 4-byte Folded Reload
	s_wait_loadcnt 0x0
	ds_store_b128 v0, v[12:15]
	ds_store_b128 v0, v[92:95] offset:208
	ds_store_b128 v0, v[96:99] offset:416
	s_and_saveexec_b32 s10, vcc_lo
	s_cbranch_execz .LBB0_9
; %bb.8:
	v_mul_f64_e32 v[0:1], v[58:59], v[108:109]
	v_mul_f64_e32 v[2:3], v[54:55], v[112:113]
	;; [unrolled: 1-line block ×4, first 2 shown]
	s_delay_alu instid0(VALU_DEP_4) | instskip(NEXT) | instid1(VALU_DEP_4)
	v_fma_f64 v[0:1], v[56:57], v[110:111], -v[0:1]
	v_fma_f64 v[2:3], v[52:53], v[114:115], -v[2:3]
	s_delay_alu instid0(VALU_DEP_4) | instskip(NEXT) | instid1(VALU_DEP_4)
	v_fma_f64 v[4:5], v[56:57], v[108:109], v[4:5]
	v_fma_f64 v[6:7], v[52:53], v[112:113], v[6:7]
	s_delay_alu instid0(VALU_DEP_4) | instskip(NEXT) | instid1(VALU_DEP_4)
	v_add_f64_e32 v[14:15], v[150:151], v[0:1]
	v_add_f64_e32 v[8:9], v[0:1], v[2:3]
	v_add_f64_e64 v[16:17], v[0:1], -v[2:3]
	s_delay_alu instid0(VALU_DEP_4)
	v_add_f64_e32 v[10:11], v[4:5], v[6:7]
	v_add_f64_e64 v[12:13], v[4:5], -v[6:7]
	v_add_f64_e32 v[4:5], v[148:149], v[4:5]
	v_add_f64_e32 v[2:3], v[14:15], v[2:3]
	v_fma_f64 v[8:9], v[8:9], -0.5, v[150:151]
	v_fma_f64 v[20:21], v[10:11], -0.5, v[148:149]
	s_delay_alu instid0(VALU_DEP_4) | instskip(NEXT) | instid1(VALU_DEP_3)
	v_add_f64_e32 v[0:1], v[4:5], v[6:7]
	v_fma_f64 v[6:7], v[12:13], s[2:3], v[8:9]
	v_fma_f64 v[10:11], v[12:13], s[8:9], v[8:9]
	s_clause 0x1
	scratch_load_b32 v12, off, off th:TH_LOAD_LU
	scratch_load_b32 v13, off, off offset:168 th:TH_LOAD_LU
	v_fma_f64 v[8:9], v[16:17], s[2:3], v[20:21]
	v_fma_f64 v[4:5], v[16:17], s[8:9], v[20:21]
	s_wait_loadcnt 0x0
	v_lshl_add_u32 v12, v13, 4, v12
	ds_store_b128 v12, v[0:3] offset:7488
	ds_store_b128 v12, v[8:11] offset:7696
	;; [unrolled: 1-line block ×3, first 2 shown]
.LBB0_9:
	s_wait_alu 0xfffe
	s_or_b32 exec_lo, exec_lo, s10
	global_wb scope:SCOPE_SE
	s_wait_dscnt 0x0
	s_barrier_signal -1
	s_barrier_wait -1
	global_inv scope:SCOPE_SE
	ds_load_b128 v[0:3], v19 offset:624
	ds_load_b128 v[4:7], v19 offset:7488
	;; [unrolled: 1-line block ×4, first 2 shown]
	ds_load_b128 v[52:55], v19
	s_mov_b32 s12, 0x4267c47c
	s_mov_b32 s10, 0x42a4c3d2
	;; [unrolled: 1-line block ×15, first 2 shown]
	s_wait_dscnt 0x4
	v_mul_f64_e32 v[16:17], v[74:75], v[2:3]
	v_mul_f64_e32 v[28:29], v[74:75], v[0:1]
	ds_load_b128 v[20:23], v19 offset:1872
	ds_load_b128 v[24:27], v19 offset:6240
	;; [unrolled: 1-line block ×6, first 2 shown]
	s_wait_dscnt 0x9
	v_mul_f64_e32 v[30:31], v[146:147], v[4:5]
	s_wait_dscnt 0x8
	v_mul_f64_e32 v[32:33], v[66:67], v[8:9]
	;; [unrolled: 2-line block ×3, first 2 shown]
	v_mul_f64_e32 v[36:37], v[66:67], v[10:11]
	v_mul_f64_e32 v[102:103], v[142:143], v[14:15]
	;; [unrolled: 1-line block ×3, first 2 shown]
	ds_load_b128 v[90:93], v19 offset:3744
	ds_load_b128 v[94:97], v19 offset:4368
	scratch_load_b32 v18, off, off offset:52 th:TH_LOAD_LU ; 4-byte Folded Reload
	s_mov_b32 s29, 0xbfd6b1d8
	s_mov_b32 s24, 0x24c2f84
	;; [unrolled: 1-line block ×6, first 2 shown]
	s_wait_dscnt 0x7
	v_mul_f64_e32 v[38:39], v[62:63], v[20:21]
	s_wait_dscnt 0x6
	v_mul_f64_e32 v[58:59], v[138:139], v[24:25]
	v_mul_f64_e32 v[66:67], v[62:63], v[22:23]
	s_wait_dscnt 0x5
	v_mul_f64_e32 v[100:101], v[70:71], v[76:77]
	v_mul_f64_e32 v[70:71], v[70:71], v[74:75]
	;; [unrolled: 1-line block ×3, first 2 shown]
	s_wait_dscnt 0x3
	v_mul_f64_e32 v[112:113], v[126:127], v[84:85]
	v_mul_f64_e32 v[114:115], v[126:127], v[82:83]
	s_wait_dscnt 0x2
	v_mul_f64_e32 v[106:107], v[134:135], v[88:89]
	v_mul_f64_e32 v[108:109], v[134:135], v[86:87]
	s_mov_b32 s42, 0x93053d00
	s_mov_b32 s41, 0xbfcea1e5
	s_wait_dscnt 0x0
	v_mul_f64_e32 v[110:111], v[130:131], v[94:95]
	s_mov_b32 s43, 0xbfef11f4
	s_mov_b32 s3, 0x3fddbe06
	;; [unrolled: 1-line block ×3, first 2 shown]
	s_wait_alu 0xfffe
	s_mov_b32 s2, s12
	s_mov_b32 s8, s10
	;; [unrolled: 1-line block ×5, first 2 shown]
	v_fma_f64 v[16:17], v[72:73], v[0:1], v[16:17]
	v_fma_f64 v[28:29], v[72:73], v[2:3], -v[28:29]
	v_mul_f64_e32 v[72:73], v[130:131], v[96:97]
	v_fma_f64 v[0:1], v[144:145], v[6:7], -v[30:31]
	v_fma_f64 v[30:31], v[64:65], v[10:11], -v[32:33]
	;; [unrolled: 1-line block ×3, first 2 shown]
	v_mul_f64_e32 v[10:11], v[122:123], v[80:81]
	v_mul_f64_e32 v[14:15], v[122:123], v[78:79]
	;; [unrolled: 1-line block ×3, first 2 shown]
	v_fma_f64 v[2:3], v[144:145], v[4:5], v[98:99]
	v_mul_f64_e32 v[34:35], v[118:119], v[90:91]
	s_mov_b32 s30, s26
	s_mov_b32 s38, s24
	;; [unrolled: 1-line block ×4, first 2 shown]
	v_fma_f64 v[22:23], v[60:61], v[22:23], -v[38:39]
	v_fma_f64 v[62:63], v[136:137], v[26:27], -v[58:59]
	v_fma_f64 v[26:27], v[64:65], v[8:9], v[36:37]
	v_fma_f64 v[58:59], v[140:141], v[12:13], v[102:103]
	;; [unrolled: 1-line block ×5, first 2 shown]
	v_fma_f64 v[24:25], v[68:69], v[76:77], -v[70:71]
	v_fma_f64 v[8:9], v[124:125], v[84:85], -v[114:115]
	v_fma_f64 v[6:7], v[132:133], v[86:87], v[106:107]
	v_fma_f64 v[4:5], v[132:133], v[88:89], -v[108:109]
	v_fma_f64 v[74:75], v[128:129], v[96:97], -v[110:111]
	v_add_f64_e32 v[36:37], v[52:53], v[16:17]
	v_add_f64_e32 v[38:39], v[54:55], v[28:29]
	v_fma_f64 v[72:73], v[128:129], v[94:95], v[72:73]
	v_add_f64_e64 v[64:65], v[28:29], -v[0:1]
	v_add_f64_e32 v[28:29], v[28:29], v[0:1]
	v_add_f64_e64 v[66:67], v[30:31], -v[56:57]
	v_add_f64_e32 v[68:69], v[30:31], v[56:57]
	v_fma_f64 v[70:71], v[120:121], v[78:79], v[10:11]
	v_fma_f64 v[10:11], v[124:125], v[82:83], v[112:113]
	v_fma_f64 v[14:15], v[120:121], v[80:81], -v[14:15]
	v_fma_f64 v[32:33], v[116:117], v[90:91], v[32:33]
	v_add_f64_e32 v[80:81], v[16:17], v[2:3]
	v_add_f64_e64 v[16:17], v[16:17], -v[2:3]
	v_fma_f64 v[34:35], v[116:117], v[92:93], -v[34:35]
	v_add_f64_e64 v[76:77], v[22:23], -v[62:63]
	v_add_f64_e32 v[78:79], v[22:23], v[62:63]
	v_add_f64_e32 v[82:83], v[26:27], v[58:59]
	v_add_f64_e64 v[84:85], v[26:27], -v[58:59]
	v_add_f64_e32 v[86:87], v[20:21], v[60:61]
	v_add_f64_e64 v[88:89], v[20:21], -v[60:61]
	;; [unrolled: 2-line block ×4, first 2 shown]
	v_add_f64_e32 v[26:27], v[36:37], v[26:27]
	v_add_f64_e32 v[30:31], v[38:39], v[30:31]
	v_mul_f64_e32 v[36:37], s[12:13], v[64:65]
	v_mul_f64_e32 v[98:99], s[10:11], v[64:65]
	;; [unrolled: 1-line block ×18, first 2 shown]
	s_wait_alu 0xfffe
	v_mul_f64_e32 v[126:127], s[38:39], v[66:67]
	v_mul_f64_e32 v[128:129], s[36:37], v[68:69]
	v_mul_f64_e32 v[130:131], s[22:23], v[66:67]
	v_mul_f64_e32 v[132:133], s[20:21], v[68:69]
	v_mul_f64_e32 v[66:67], s[2:3], v[66:67]
	v_mul_f64_e32 v[68:69], s[14:15], v[68:69]
	v_mul_f64_e32 v[134:135], s[18:19], v[76:77]
	v_mul_f64_e32 v[138:139], s[40:41], v[76:77]
	v_mul_f64_e32 v[136:137], s[20:21], v[78:79]
	v_mul_f64_e32 v[140:141], s[42:43], v[78:79]
	v_mul_f64_e32 v[142:143], s[30:31], v[76:77]
	v_mul_f64_e32 v[144:145], s[28:29], v[78:79]
	v_mul_f64_e32 v[146:147], s[2:3], v[76:77]
	v_mul_f64_e32 v[148:149], s[14:15], v[78:79]
	v_mul_f64_e32 v[150:151], s[10:11], v[76:77]
	v_mul_f64_e32 v[152:153], s[16:17], v[78:79]
	v_mul_f64_e32 v[76:77], s[24:25], v[76:77]
	v_add_f64_e32 v[20:21], v[26:27], v[20:21]
	v_add_f64_e32 v[22:23], v[30:31], v[22:23]
	v_mul_f64_e32 v[78:79], s[36:37], v[78:79]
	v_fma_f64 v[26:27], v[80:81], s[14:15], v[36:37]
	v_fma_f64 v[36:37], v[80:81], s[14:15], -v[36:37]
	v_fma_f64 v[174:175], v[80:81], s[16:17], v[98:99]
	v_fma_f64 v[98:99], v[80:81], s[16:17], -v[98:99]
	v_fma_f64 v[178:179], v[80:81], s[20:21], v[102:103]
	v_fma_f64 v[30:31], v[16:17], s[2:3], v[38:39]
	;; [unrolled: 1-line block ×6, first 2 shown]
	v_fma_f64 v[102:103], v[80:81], s[20:21], -v[102:103]
	v_fma_f64 v[104:105], v[16:17], s[18:19], v[104:105]
	v_fma_f64 v[182:183], v[80:81], s[28:29], v[106:107]
	;; [unrolled: 1-line block ×3, first 2 shown]
	v_fma_f64 v[106:107], v[80:81], s[28:29], -v[106:107]
	v_fma_f64 v[108:109], v[16:17], s[26:27], v[108:109]
	v_fma_f64 v[186:187], v[80:81], s[36:37], v[110:111]
	;; [unrolled: 1-line block ×7, first 2 shown]
	v_fma_f64 v[110:111], v[80:81], s[36:37], -v[110:111]
	v_fma_f64 v[64:65], v[80:81], s[42:43], -v[64:65]
	v_fma_f64 v[28:29], v[82:83], s[16:17], v[114:115]
	v_fma_f64 v[114:115], v[82:83], s[16:17], -v[114:115]
	v_fma_f64 v[194:195], v[82:83], s[28:29], v[118:119]
	;; [unrolled: 2-line block ×3, first 2 shown]
	v_fma_f64 v[80:81], v[84:85], s[8:9], v[116:117]
	v_fma_f64 v[116:117], v[84:85], s[10:11], v[116:117]
	;; [unrolled: 1-line block ×5, first 2 shown]
	v_fma_f64 v[122:123], v[82:83], s[42:43], -v[122:123]
	v_add_f64_e32 v[12:13], v[20:21], v[12:13]
	v_add_f64_e32 v[20:21], v[22:23], v[24:25]
	v_fma_f64 v[124:125], v[84:85], s[40:41], v[124:125]
	v_add_f64_e32 v[26:27], v[52:53], v[26:27]
	v_add_f64_e32 v[36:37], v[52:53], v[36:37]
	;; [unrolled: 1-line block ×10, first 2 shown]
	v_fma_f64 v[203:204], v[82:83], s[36:37], v[126:127]
	v_fma_f64 v[205:206], v[84:85], s[24:25], v[128:129]
	v_add_f64_e32 v[102:103], v[52:53], v[102:103]
	v_add_f64_e32 v[104:105], v[54:55], v[104:105]
	;; [unrolled: 1-line block ×4, first 2 shown]
	v_fma_f64 v[22:23], v[82:83], s[36:37], -v[126:127]
	v_fma_f64 v[24:25], v[84:85], s[38:39], v[128:129]
	v_fma_f64 v[126:127], v[82:83], s[20:21], v[130:131]
	;; [unrolled: 1-line block ×3, first 2 shown]
	v_add_f64_e32 v[106:107], v[52:53], v[106:107]
	v_add_f64_e32 v[108:109], v[54:55], v[108:109]
	;; [unrolled: 1-line block ×4, first 2 shown]
	v_fma_f64 v[207:208], v[82:83], s[14:15], v[66:67]
	v_fma_f64 v[209:210], v[84:85], s[12:13], v[68:69]
	;; [unrolled: 1-line block ×3, first 2 shown]
	v_add_f64_e32 v[190:191], v[52:53], v[190:191]
	v_add_f64_e32 v[192:193], v[54:55], v[192:193]
	;; [unrolled: 1-line block ×3, first 2 shown]
	v_fma_f64 v[66:67], v[82:83], s[14:15], -v[66:67]
	v_add_f64_e32 v[110:111], v[52:53], v[110:111]
	v_add_f64_e32 v[52:53], v[52:53], v[64:65]
	v_fma_f64 v[130:131], v[82:83], s[20:21], -v[130:131]
	v_fma_f64 v[132:133], v[84:85], s[22:23], v[132:133]
	v_add_f64_e32 v[12:13], v[12:13], v[70:71]
	v_add_f64_e32 v[20:21], v[20:21], v[14:15]
	;; [unrolled: 1-line block ×3, first 2 shown]
	v_mul_f64_e32 v[154:155], s[26:27], v[96:97]
	v_mul_f64_e32 v[156:157], s[28:29], v[92:93]
	;; [unrolled: 1-line block ×12, first 2 shown]
	v_fma_f64 v[82:83], v[86:87], s[20:21], v[134:135]
	v_fma_f64 v[134:135], v[86:87], s[20:21], -v[134:135]
	v_fma_f64 v[54:55], v[86:87], s[42:43], v[138:139]
	v_add_f64_e32 v[36:37], v[114:115], v[36:37]
	v_add_f64_e32 v[174:175], v[194:195], v[174:175]
	;; [unrolled: 1-line block ×4, first 2 shown]
	v_add_f64_e64 v[178:179], v[14:15], -v[8:9]
	v_add_f64_e32 v[14:15], v[14:15], v[8:9]
	v_fma_f64 v[84:85], v[88:89], s[22:23], v[136:137]
	v_fma_f64 v[136:137], v[88:89], s[18:19], v[136:137]
	;; [unrolled: 1-line block ×3, first 2 shown]
	v_add_f64_e32 v[26:27], v[28:29], v[26:27]
	v_add_f64_e32 v[38:39], v[116:117], v[38:39]
	;; [unrolled: 1-line block ×3, first 2 shown]
	v_fma_f64 v[28:29], v[86:87], s[28:29], v[142:143]
	v_add_f64_e32 v[30:31], v[80:81], v[30:31]
	v_fma_f64 v[80:81], v[88:89], s[26:27], v[144:145]
	v_add_f64_e32 v[100:101], v[120:121], v[100:101]
	v_add_f64_e32 v[120:121], v[201:202], v[180:181]
	v_fma_f64 v[138:139], v[86:87], s[42:43], -v[138:139]
	v_fma_f64 v[140:141], v[88:89], s[40:41], v[140:141]
	v_fma_f64 v[144:145], v[88:89], s[30:31], v[144:145]
	v_add_f64_e32 v[12:13], v[12:13], v[32:33]
	v_add_f64_e32 v[20:21], v[20:21], v[34:35]
	v_fma_f64 v[114:115], v[86:87], s[14:15], v[146:147]
	v_fma_f64 v[116:117], v[88:89], s[12:13], v[148:149]
	v_add_f64_e32 v[102:103], v[122:123], v[102:103]
	v_add_f64_e32 v[104:105], v[124:125], v[104:105]
	;; [unrolled: 1-line block ×4, first 2 shown]
	v_fma_f64 v[142:143], v[86:87], s[28:29], -v[142:143]
	v_fma_f64 v[194:195], v[86:87], s[16:17], v[150:151]
	v_fma_f64 v[196:197], v[88:89], s[8:9], v[152:153]
	v_add_f64_e32 v[22:23], v[22:23], v[106:107]
	v_add_f64_e32 v[24:25], v[24:25], v[108:109]
	;; [unrolled: 1-line block ×4, first 2 shown]
	v_fma_f64 v[126:127], v[86:87], s[36:37], v[76:77]
	v_fma_f64 v[128:129], v[88:89], s[38:39], v[78:79]
	;; [unrolled: 1-line block ×3, first 2 shown]
	v_add_f64_e32 v[190:191], v[207:208], v[190:191]
	v_add_f64_e32 v[192:193], v[209:210], v[192:193]
	;; [unrolled: 1-line block ×3, first 2 shown]
	v_fma_f64 v[76:77], v[86:87], s[36:37], -v[76:77]
	v_add_f64_e32 v[52:53], v[66:67], v[52:53]
	v_fma_f64 v[150:151], v[86:87], s[16:17], -v[150:151]
	v_fma_f64 v[152:153], v[88:89], s[10:11], v[152:153]
	v_add_f64_e32 v[110:111], v[130:131], v[110:111]
	v_add_f64_e32 v[112:113], v[132:133], v[112:113]
	v_fma_f64 v[146:147], v[86:87], s[14:15], -v[146:147]
	v_fma_f64 v[148:149], v[88:89], s[2:3], v[148:149]
	v_add_f64_e32 v[130:131], v[32:33], v[72:73]
	v_add_f64_e64 v[32:33], v[32:33], -v[72:73]
	v_fma_f64 v[86:87], v[90:91], s[28:29], v[154:155]
	v_fma_f64 v[88:89], v[94:95], s[30:31], v[156:157]
	v_fma_f64 v[154:155], v[90:91], s[28:29], -v[154:155]
	v_fma_f64 v[156:157], v[94:95], s[26:27], v[156:157]
	v_fma_f64 v[180:181], v[90:91], s[36:37], v[158:159]
	;; [unrolled: 1-line block ×3, first 2 shown]
	v_fma_f64 v[158:159], v[90:91], s[36:37], -v[158:159]
	v_add_f64_e32 v[12:13], v[12:13], v[72:73]
	v_add_f64_e32 v[20:21], v[20:21], v[74:75]
	v_add_f64_e32 v[72:73], v[70:71], v[10:11]
	v_add_f64_e64 v[70:71], v[70:71], -v[10:11]
	v_fma_f64 v[160:161], v[94:95], s[38:39], v[160:161]
	v_fma_f64 v[184:185], v[90:91], s[14:15], v[162:163]
	v_fma_f64 v[186:187], v[94:95], s[12:13], v[164:165]
	v_fma_f64 v[162:163], v[90:91], s[14:15], -v[162:163]
	v_fma_f64 v[164:165], v[94:95], s[2:3], v[164:165]
	v_fma_f64 v[188:189], v[90:91], s[20:21], v[166:167]
	v_fma_f64 v[198:199], v[94:95], s[22:23], v[168:169]
	v_fma_f64 v[166:167], v[90:91], s[20:21], -v[166:167]
	;; [unrolled: 4-line block ×3, first 2 shown]
	v_fma_f64 v[172:173], v[94:95], s[34:35], v[172:173]
	v_fma_f64 v[205:206], v[90:91], s[16:17], v[96:97]
	v_fma_f64 v[90:91], v[90:91], s[16:17], -v[96:97]
	v_fma_f64 v[96:97], v[94:95], s[10:11], v[92:93]
	v_fma_f64 v[92:93], v[94:95], s[8:9], v[92:93]
	v_add_f64_e64 v[94:95], v[34:35], -v[74:75]
	v_add_f64_e32 v[34:35], v[34:35], v[74:75]
	v_mul_f64_e32 v[74:75], s[36:37], v[14:15]
	v_mul_f64_e32 v[209:210], s[20:21], v[14:15]
	;; [unrolled: 1-line block ×3, first 2 shown]
	v_add_f64_e32 v[36:37], v[134:135], v[36:37]
	v_mul_f64_e32 v[134:135], s[42:43], v[14:15]
	v_add_f64_e32 v[54:55], v[54:55], v[174:175]
	v_mul_f64_e32 v[174:175], s[14:15], v[14:15]
	v_mul_f64_e32 v[14:15], s[28:29], v[14:15]
	;; [unrolled: 1-line block ×4, first 2 shown]
	v_add_f64_e32 v[26:27], v[82:83], v[26:27]
	v_add_f64_e32 v[38:39], v[136:137], v[38:39]
	;; [unrolled: 1-line block ×3, first 2 shown]
	v_mul_f64_e32 v[66:67], s[10:11], v[178:179]
	v_add_f64_e32 v[28:29], v[28:29], v[118:119]
	v_add_f64_e32 v[10:11], v[12:13], v[10:11]
	;; [unrolled: 1-line block ×4, first 2 shown]
	v_mul_f64_e32 v[82:83], s[34:35], v[178:179]
	v_add_f64_e32 v[98:99], v[138:139], v[98:99]
	v_add_f64_e32 v[100:101], v[140:141], v[100:101]
	v_add_f64_e32 v[104:105], v[144:145], v[104:105]
	v_add_f64_e32 v[114:115], v[114:115], v[122:123]
	v_add_f64_e32 v[116:117], v[116:117], v[124:125]
	v_mul_f64_e32 v[136:137], s[2:3], v[178:179]
	v_add_f64_e32 v[102:103], v[142:143], v[102:103]
	v_add_f64_e32 v[106:107], v[194:195], v[106:107]
	;; [unrolled: 1-line block ×3, first 2 shown]
	v_mul_f64_e32 v[178:179], s[26:27], v[178:179]
	v_add_f64_e32 v[126:127], v[126:127], v[190:191]
	v_add_f64_e32 v[128:129], v[128:129], v[192:193]
	;; [unrolled: 1-line block ×8, first 2 shown]
	v_mul_f64_e32 v[176:177], s[40:41], v[94:95]
	v_mul_f64_e32 v[140:141], s[2:3], v[94:95]
	;; [unrolled: 1-line block ×5, first 2 shown]
	v_fma_f64 v[146:147], v[70:71], s[38:39], v[74:75]
	v_fma_f64 v[74:75], v[70:71], s[24:25], v[74:75]
	;; [unrolled: 1-line block ×5, first 2 shown]
	v_fma_f64 v[132:133], v[72:73], s[36:37], -v[132:133]
	v_fma_f64 v[148:149], v[72:73], s[20:21], v[207:208]
	v_add_f64_e32 v[26:27], v[86:87], v[26:27]
	v_add_f64_e32 v[36:37], v[154:155], v[36:37]
	;; [unrolled: 1-line block ×6, first 2 shown]
	v_fma_f64 v[8:9], v[70:71], s[26:27], v[14:15]
	v_add_f64_e32 v[14:15], v[84:85], v[30:31]
	v_add_f64_e32 v[64:65], v[182:183], v[64:65]
	v_mul_f64_e32 v[142:143], s[36:37], v[34:35]
	v_fma_f64 v[196:197], v[72:73], s[16:17], v[66:67]
	v_fma_f64 v[150:151], v[70:71], s[8:9], v[68:69]
	v_add_f64_e32 v[28:29], v[184:185], v[28:29]
	v_add_f64_e32 v[80:81], v[186:187], v[80:81]
	v_mul_f64_e32 v[144:145], s[8:9], v[94:95]
	v_mul_f64_e32 v[12:13], s[16:17], v[34:35]
	v_fma_f64 v[207:208], v[72:73], s[20:21], -v[207:208]
	v_fma_f64 v[209:210], v[70:71], s[22:23], v[209:210]
	v_fma_f64 v[68:69], v[70:71], s[10:11], v[68:69]
	;; [unrolled: 1-line block ×4, first 2 shown]
	v_add_f64_e32 v[98:99], v[158:159], v[98:99]
	v_add_f64_e32 v[100:101], v[160:161], v[100:101]
	;; [unrolled: 1-line block ×5, first 2 shown]
	v_mul_f64_e32 v[122:123], s[26:27], v[94:95]
	v_fma_f64 v[66:67], v[72:73], s[16:17], -v[66:67]
	v_fma_f64 v[192:193], v[72:73], s[14:15], v[136:137]
	v_fma_f64 v[76:77], v[70:71], s[12:13], v[174:175]
	v_add_f64_e32 v[102:103], v[162:163], v[102:103]
	v_add_f64_e32 v[106:107], v[201:202], v[106:107]
	;; [unrolled: 1-line block ×3, first 2 shown]
	v_mul_f64_e32 v[138:139], s[42:43], v[34:35]
	v_mul_f64_e32 v[94:95], s[22:23], v[94:95]
	;; [unrolled: 1-line block ×3, first 2 shown]
	v_fma_f64 v[10:11], v[72:73], s[28:29], v[178:179]
	v_add_f64_e32 v[126:127], v[205:206], v[126:127]
	v_add_f64_e32 v[96:97], v[96:97], v[128:129]
	;; [unrolled: 1-line block ×3, first 2 shown]
	v_fma_f64 v[82:83], v[72:73], s[42:43], -v[82:83]
	v_fma_f64 v[136:137], v[72:73], s[14:15], -v[136:137]
	;; [unrolled: 1-line block ×3, first 2 shown]
	v_add_f64_e32 v[52:53], v[90:91], v[52:53]
	v_fma_f64 v[174:175], v[70:71], s[2:3], v[174:175]
	v_add_f64_e32 v[110:111], v[170:171], v[110:111]
	v_add_f64_e32 v[112:113], v[172:173], v[112:113]
	v_fma_f64 v[134:135], v[70:71], s[34:35], v[134:135]
	v_add_f64_e32 v[22:23], v[166:167], v[22:23]
	v_add_f64_e32 v[24:25], v[168:169], v[24:25]
	;; [unrolled: 1-line block ×5, first 2 shown]
	v_fma_f64 v[30:31], v[130:131], s[42:43], v[176:177]
	v_fma_f64 v[70:71], v[130:131], s[42:43], -v[176:177]
	v_fma_f64 v[176:177], v[130:131], s[14:15], v[140:141]
	v_fma_f64 v[178:179], v[32:33], s[12:13], v[118:119]
	v_fma_f64 v[86:87], v[130:131], s[36:37], v[120:121]
	v_fma_f64 v[60:61], v[130:131], s[36:37], -v[120:121]
	v_fma_f64 v[120:121], v[32:33], s[30:31], v[20:21]
	v_fma_f64 v[128:129], v[32:33], s[26:27], v[20:21]
	v_add_f64_e32 v[20:21], v[124:125], v[26:27]
	v_add_f64_e32 v[26:27], v[132:133], v[36:37]
	;; [unrolled: 1-line block ×5, first 2 shown]
	v_fma_f64 v[154:155], v[32:33], s[38:39], v[142:143]
	v_add_f64_e32 v[28:29], v[196:197], v[28:29]
	v_add_f64_e32 v[74:75], v[150:151], v[80:81]
	v_fma_f64 v[90:91], v[130:131], s[16:17], v[144:145]
	v_fma_f64 v[92:93], v[32:33], s[10:11], v[12:13]
	v_add_f64_e32 v[64:65], v[207:208], v[98:99]
	v_add_f64_e32 v[98:99], v[209:210], v[100:101]
	;; [unrolled: 1-line block ×5, first 2 shown]
	v_fma_f64 v[140:141], v[130:131], s[14:15], -v[140:141]
	v_fma_f64 v[88:89], v[130:131], s[28:29], v[122:123]
	v_add_f64_e32 v[66:67], v[66:67], v[102:103]
	v_add_f64_e32 v[102:103], v[192:193], v[106:107]
	;; [unrolled: 1-line block ×3, first 2 shown]
	v_fma_f64 v[62:63], v[130:131], s[16:17], -v[144:145]
	v_fma_f64 v[144:145], v[130:131], s[20:21], v[94:95]
	v_fma_f64 v[156:157], v[32:33], s[18:19], v[34:35]
	;; [unrolled: 1-line block ×3, first 2 shown]
	v_add_f64_e32 v[108:109], v[10:11], v[126:127]
	v_add_f64_e32 v[78:79], v[78:79], v[96:97]
	v_add_f64_e32 v[16:17], v[8:9], v[16:17]
	v_fma_f64 v[94:95], v[130:131], s[20:21], -v[94:95]
	v_add_f64_e32 v[96:97], v[72:73], v[52:53]
	v_fma_f64 v[122:123], v[130:131], s[28:29], -v[122:123]
	v_add_f64_e32 v[104:105], v[136:137], v[110:111]
	v_add_f64_e32 v[106:107], v[174:175], v[112:113]
	;; [unrolled: 1-line block ×4, first 2 shown]
	v_fma_f64 v[110:111], v[32:33], s[8:9], v[12:13]
	v_fma_f64 v[112:113], v[32:33], s[24:25], v[142:143]
	;; [unrolled: 1-line block ×4, first 2 shown]
	v_add_f64_e32 v[6:7], v[6:7], v[58:59]
	v_add_f64_e32 v[116:117], v[4:5], v[56:57]
	v_fma_f64 v[32:33], v[32:33], s[34:35], v[138:139]
	v_add_f64_e32 v[118:119], v[146:147], v[14:15]
	v_add_f64_e32 v[12:13], v[176:177], v[38:39]
	;; [unrolled: 1-line block ×7, first 2 shown]
	s_wait_loadcnt 0x0
	v_mad_co_u64_u32 v[28:29], null, s4, v18, 0
	s_mul_u64 s[2:3], s[4:5], 0x270
	v_add_f64_e32 v[56:57], v[90:91], v[68:69]
	v_add_f64_e32 v[58:59], v[92:93], v[100:101]
	;; [unrolled: 1-line block ×9, first 2 shown]
	v_mad_co_u64_u32 v[16:17], null, s6, v200, 0
	v_add_f64_e32 v[76:77], v[94:95], v[96:97]
	v_add_f64_e32 v[68:69], v[122:123], v[104:105]
	;; [unrolled: 1-line block ×10, first 2 shown]
	v_dual_mov_b32 v0, v17 :: v_dual_mov_b32 v1, v29
	v_add_f64_e32 v[6:7], v[32:33], v[118:119]
	ds_store_b128 v19, v[12:15] offset:1248
	ds_store_b128 v19, v[24:27] offset:1872
	;; [unrolled: 1-line block ×11, first 2 shown]
	ds_store_b128 v19, v[80:83]
	ds_store_b128 v19, v[4:7] offset:624
	v_mad_co_u64_u32 v[2:3], null, s7, v200, v[0:1]
	global_wb scope:SCOPE_SE
	s_wait_dscnt 0x0
	s_barrier_signal -1
	s_barrier_wait -1
	global_inv scope:SCOPE_SE
	ds_load_b128 v[4:7], v19 offset:624
	ds_load_b128 v[8:11], v19 offset:1248
	v_mov_b32_e32 v17, v2
	v_mad_co_u64_u32 v[0:1], null, s5, v18, v[1:2]
	s_delay_alu instid0(VALU_DEP_2) | instskip(NEXT) | instid1(VALU_DEP_2)
	v_lshlrev_b64_e32 v[16:17], 4, v[16:17]
	v_mov_b32_e32 v29, v0
	ds_load_b128 v[0:3], v19
	v_add_co_u32 v94, vcc_lo, s0, v16
	ds_load_b128 v[12:15], v19 offset:1872
	ds_load_b128 v[20:23], v19 offset:2496
	;; [unrolled: 1-line block ×4, first 2 shown]
	s_wait_alu 0xfffd
	v_add_co_ci_u32_e32 v95, vcc_lo, s1, v17, vcc_lo
	ds_load_b128 v[56:59], v19 offset:4368
	ds_load_b128 v[60:63], v19 offset:4992
	;; [unrolled: 1-line block ×6, first 2 shown]
	s_clause 0x1
	scratch_load_b128 v[120:123], off, off offset:20 th:TH_LOAD_LU
	scratch_load_b128 v[116:119], off, off offset:4 th:TH_LOAD_LU
	v_lshlrev_b64_e32 v[28:29], 4, v[28:29]
	s_mov_b32 s0, 0xfc7729e9
	s_mov_b32 s1, 0x3f602864
	s_delay_alu instid0(VALU_DEP_1) | instskip(SKIP_1) | instid1(VALU_DEP_2)
	v_add_co_u32 v94, vcc_lo, v94, v28
	s_wait_alu 0xfffd
	v_add_co_ci_u32_e32 v95, vcc_lo, v95, v29, vcc_lo
	s_wait_alu 0xfffe
	s_delay_alu instid0(VALU_DEP_2) | instskip(SKIP_1) | instid1(VALU_DEP_2)
	v_add_co_u32 v112, vcc_lo, v94, s2
	s_wait_alu 0xfffd
	v_add_co_ci_u32_e32 v113, vcc_lo, s3, v95, vcc_lo
	s_wait_dscnt 0x2
	v_mul_f64_e32 v[106:107], v[42:43], v[70:71]
	v_mul_f64_e32 v[42:43], v[42:43], v[68:69]
	s_wait_dscnt 0x1
	v_mul_f64_e32 v[108:109], v[46:47], v[74:75]
	v_mul_f64_e32 v[46:47], v[46:47], v[72:73]
	;; [unrolled: 3-line block ×3, first 2 shown]
	v_add_co_u32 v114, vcc_lo, v112, s2
	s_wait_alu 0xfffd
	v_add_co_ci_u32_e32 v115, vcc_lo, s3, v113, vcc_lo
	v_fma_f64 v[42:43], v[40:41], v[70:71], -v[42:43]
	v_fma_f64 v[46:47], v[44:45], v[74:75], -v[46:47]
	;; [unrolled: 1-line block ×3, first 2 shown]
	s_delay_alu instid0(VALU_DEP_3) | instskip(NEXT) | instid1(VALU_DEP_3)
	v_mul_f64_e32 v[42:43], s[0:1], v[42:43]
	v_mul_f64_e32 v[46:47], s[0:1], v[46:47]
	s_delay_alu instid0(VALU_DEP_3)
	v_mul_f64_e32 v[50:51], s[0:1], v[50:51]
	s_wait_loadcnt 0x1
	v_mul_f64_e32 v[30:31], v[122:123], v[2:3]
	v_mul_f64_e32 v[32:33], v[122:123], v[0:1]
	scratch_load_b128 v[122:125], off, off offset:36 th:TH_LOAD_LU ; 16-byte Folded Reload
	s_wait_loadcnt 0x1
	v_mul_f64_e32 v[34:35], v[118:119], v[6:7]
	v_mul_f64_e32 v[36:37], v[118:119], v[4:5]
	v_fma_f64 v[0:1], v[120:121], v[0:1], v[30:31]
	v_fma_f64 v[2:3], v[120:121], v[2:3], -v[32:33]
	s_delay_alu instid0(VALU_DEP_4) | instskip(NEXT) | instid1(VALU_DEP_4)
	v_fma_f64 v[4:5], v[116:117], v[4:5], v[34:35]
	v_fma_f64 v[6:7], v[116:117], v[6:7], -v[36:37]
	s_delay_alu instid0(VALU_DEP_4) | instskip(NEXT) | instid1(VALU_DEP_4)
	v_mul_f64_e32 v[0:1], s[0:1], v[0:1]
	v_mul_f64_e32 v[2:3], s[0:1], v[2:3]
	s_delay_alu instid0(VALU_DEP_4) | instskip(NEXT) | instid1(VALU_DEP_4)
	v_mul_f64_e32 v[4:5], s[0:1], v[4:5]
	v_mul_f64_e32 v[6:7], s[0:1], v[6:7]
	s_wait_loadcnt 0x0
	v_mul_f64_e32 v[38:39], v[124:125], v[10:11]
	v_mul_f64_e32 v[76:77], v[124:125], v[8:9]
	scratch_load_b128 v[124:127], off, off offset:56 th:TH_LOAD_LU ; 16-byte Folded Reload
	v_fma_f64 v[8:9], v[122:123], v[8:9], v[38:39]
	v_fma_f64 v[10:11], v[122:123], v[10:11], -v[76:77]
	s_delay_alu instid0(VALU_DEP_2) | instskip(NEXT) | instid1(VALU_DEP_2)
	v_mul_f64_e32 v[8:9], s[0:1], v[8:9]
	v_mul_f64_e32 v[10:11], s[0:1], v[10:11]
	s_wait_loadcnt 0x0
	v_mul_f64_e32 v[78:79], v[126:127], v[14:15]
	v_mul_f64_e32 v[80:81], v[126:127], v[12:13]
	scratch_load_b128 v[126:129], off, off offset:72 th:TH_LOAD_LU ; 16-byte Folded Reload
	v_fma_f64 v[12:13], v[124:125], v[12:13], v[78:79]
	v_fma_f64 v[14:15], v[124:125], v[14:15], -v[80:81]
	s_delay_alu instid0(VALU_DEP_2) | instskip(NEXT) | instid1(VALU_DEP_2)
	v_mul_f64_e32 v[12:13], s[0:1], v[12:13]
	v_mul_f64_e32 v[14:15], s[0:1], v[14:15]
	s_wait_loadcnt 0x0
	v_mul_f64_e32 v[82:83], v[128:129], v[22:23]
	v_mul_f64_e32 v[84:85], v[128:129], v[20:21]
	scratch_load_b128 v[128:131], off, off offset:88 th:TH_LOAD_LU ; 16-byte Folded Reload
	v_fma_f64 v[20:21], v[126:127], v[20:21], v[82:83]
	v_fma_f64 v[22:23], v[126:127], v[22:23], -v[84:85]
	s_delay_alu instid0(VALU_DEP_1)
	v_mul_f64_e32 v[18:19], s[0:1], v[22:23]
	s_wait_loadcnt 0x0
	v_mul_f64_e32 v[86:87], v[130:131], v[26:27]
	v_mul_f64_e32 v[88:89], v[130:131], v[24:25]
	scratch_load_b128 v[130:133], off, off offset:104 th:TH_LOAD_LU ; 16-byte Folded Reload
	v_fma_f64 v[24:25], v[128:129], v[24:25], v[86:87]
	v_fma_f64 v[26:27], v[128:129], v[26:27], -v[88:89]
	s_delay_alu instid0(VALU_DEP_1)
	v_mul_f64_e32 v[22:23], s[0:1], v[26:27]
	s_wait_loadcnt 0x0
	v_mul_f64_e32 v[90:91], v[132:133], v[54:55]
	v_mul_f64_e32 v[92:93], v[132:133], v[52:53]
	scratch_load_b128 v[132:135], off, off offset:120 th:TH_LOAD_LU ; 16-byte Folded Reload
	v_fma_f64 v[30:31], v[130:131], v[52:53], v[90:91]
	v_fma_f64 v[32:33], v[130:131], v[54:55], -v[92:93]
	v_add_co_u32 v52, vcc_lo, v114, s2
	s_wait_alu 0xfffd
	v_add_co_ci_u32_e32 v53, vcc_lo, s3, v115, vcc_lo
	s_delay_alu instid0(VALU_DEP_3)
	v_mul_f64_e32 v[26:27], s[0:1], v[32:33]
	s_wait_loadcnt 0x0
	v_mul_f64_e32 v[28:29], v[134:135], v[58:59]
	v_mul_f64_e32 v[96:97], v[134:135], v[56:57]
	scratch_load_b128 v[134:137], off, off offset:136 th:TH_LOAD_LU ; 16-byte Folded Reload
	v_fma_f64 v[28:29], v[132:133], v[56:57], v[28:29]
	v_fma_f64 v[34:35], v[132:133], v[58:59], -v[96:97]
	v_fma_f64 v[58:59], v[40:41], v[68:69], v[106:107]
	s_delay_alu instid0(VALU_DEP_3) | instskip(NEXT) | instid1(VALU_DEP_2)
	v_mul_f64_e32 v[28:29], s[0:1], v[28:29]
	v_mul_f64_e32 v[40:41], s[0:1], v[58:59]
	s_wait_loadcnt 0x0
	v_mul_f64_e32 v[98:99], v[136:137], v[62:63]
	v_mul_f64_e32 v[100:101], v[136:137], v[60:61]
	scratch_load_b128 v[136:139], off, off offset:152 th:TH_LOAD_LU ; 16-byte Folded Reload
	v_fma_f64 v[36:37], v[134:135], v[60:61], v[98:99]
	v_fma_f64 v[38:39], v[134:135], v[62:63], -v[100:101]
	v_fma_f64 v[60:61], v[44:45], v[72:73], v[108:109]
	v_fma_f64 v[62:63], v[48:49], v[16:17], v[110:111]
	v_mul_f64_e32 v[16:17], s[0:1], v[20:21]
	v_mul_f64_e32 v[20:21], s[0:1], v[24:25]
	;; [unrolled: 1-line block ×8, first 2 shown]
	s_wait_loadcnt 0x0
	v_mul_f64_e32 v[102:103], v[138:139], v[66:67]
	v_mul_f64_e32 v[104:105], v[138:139], v[64:65]
	s_delay_alu instid0(VALU_DEP_2) | instskip(NEXT) | instid1(VALU_DEP_2)
	v_fma_f64 v[54:55], v[136:137], v[64:65], v[102:103]
	v_fma_f64 v[56:57], v[136:137], v[66:67], -v[104:105]
	v_add_co_u32 v64, vcc_lo, v52, s2
	s_wait_alu 0xfffd
	v_add_co_ci_u32_e32 v65, vcc_lo, s3, v53, vcc_lo
	s_delay_alu instid0(VALU_DEP_2) | instskip(SKIP_1) | instid1(VALU_DEP_2)
	v_add_co_u32 v66, vcc_lo, v64, s2
	s_wait_alu 0xfffd
	v_add_co_ci_u32_e32 v67, vcc_lo, s3, v65, vcc_lo
	s_clause 0x4
	global_store_b128 v[94:95], v[0:3], off
	global_store_b128 v[112:113], v[4:7], off
	;; [unrolled: 1-line block ×6, first 2 shown]
	v_add_co_u32 v68, vcc_lo, v66, s2
	s_wait_alu 0xfffd
	v_add_co_ci_u32_e32 v69, vcc_lo, s3, v67, vcc_lo
	global_store_b128 v[68:69], v[24:27], off
	v_mul_f64_e32 v[36:37], s[0:1], v[54:55]
	v_mul_f64_e32 v[38:39], s[0:1], v[56:57]
	v_add_co_u32 v54, vcc_lo, v68, s2
	s_wait_alu 0xfffd
	v_add_co_ci_u32_e32 v55, vcc_lo, s3, v69, vcc_lo
	s_delay_alu instid0(VALU_DEP_2) | instskip(SKIP_1) | instid1(VALU_DEP_2)
	v_add_co_u32 v56, vcc_lo, v54, s2
	s_wait_alu 0xfffd
	v_add_co_ci_u32_e32 v57, vcc_lo, s3, v55, vcc_lo
	global_store_b128 v[54:55], v[28:31], off
	v_add_co_u32 v58, vcc_lo, v56, s2
	s_wait_alu 0xfffd
	v_add_co_ci_u32_e32 v59, vcc_lo, s3, v57, vcc_lo
	s_delay_alu instid0(VALU_DEP_2) | instskip(SKIP_1) | instid1(VALU_DEP_2)
	v_add_co_u32 v0, vcc_lo, v58, s2
	s_wait_alu 0xfffd
	v_add_co_ci_u32_e32 v1, vcc_lo, s3, v59, vcc_lo
	s_delay_alu instid0(VALU_DEP_2) | instskip(SKIP_1) | instid1(VALU_DEP_2)
	;; [unrolled: 4-line block ×3, first 2 shown]
	v_add_co_u32 v4, vcc_lo, v2, s2
	s_wait_alu 0xfffd
	v_add_co_ci_u32_e32 v5, vcc_lo, s3, v3, vcc_lo
	global_store_b128 v[56:57], v[32:35], off
	global_store_b128 v[58:59], v[36:39], off
	;; [unrolled: 1-line block ×5, first 2 shown]
.LBB0_10:
	s_nop 0
	s_sendmsg sendmsg(MSG_DEALLOC_VGPRS)
	s_endpgm
	.section	.rodata,"a",@progbits
	.p2align	6, 0x0
	.amdhsa_kernel bluestein_single_back_len507_dim1_dp_op_CI_CI
		.amdhsa_group_segment_fixed_size 24336
		.amdhsa_private_segment_fixed_size 264
		.amdhsa_kernarg_size 104
		.amdhsa_user_sgpr_count 2
		.amdhsa_user_sgpr_dispatch_ptr 0
		.amdhsa_user_sgpr_queue_ptr 0
		.amdhsa_user_sgpr_kernarg_segment_ptr 1
		.amdhsa_user_sgpr_dispatch_id 0
		.amdhsa_user_sgpr_private_segment_size 0
		.amdhsa_wavefront_size32 1
		.amdhsa_uses_dynamic_stack 0
		.amdhsa_enable_private_segment 1
		.amdhsa_system_sgpr_workgroup_id_x 1
		.amdhsa_system_sgpr_workgroup_id_y 0
		.amdhsa_system_sgpr_workgroup_id_z 0
		.amdhsa_system_sgpr_workgroup_info 0
		.amdhsa_system_vgpr_workitem_id 0
		.amdhsa_next_free_vgpr 256
		.amdhsa_next_free_sgpr 46
		.amdhsa_reserve_vcc 1
		.amdhsa_float_round_mode_32 0
		.amdhsa_float_round_mode_16_64 0
		.amdhsa_float_denorm_mode_32 3
		.amdhsa_float_denorm_mode_16_64 3
		.amdhsa_fp16_overflow 0
		.amdhsa_workgroup_processor_mode 1
		.amdhsa_memory_ordered 1
		.amdhsa_forward_progress 0
		.amdhsa_round_robin_scheduling 0
		.amdhsa_exception_fp_ieee_invalid_op 0
		.amdhsa_exception_fp_denorm_src 0
		.amdhsa_exception_fp_ieee_div_zero 0
		.amdhsa_exception_fp_ieee_overflow 0
		.amdhsa_exception_fp_ieee_underflow 0
		.amdhsa_exception_fp_ieee_inexact 0
		.amdhsa_exception_int_div_zero 0
	.end_amdhsa_kernel
	.text
.Lfunc_end0:
	.size	bluestein_single_back_len507_dim1_dp_op_CI_CI, .Lfunc_end0-bluestein_single_back_len507_dim1_dp_op_CI_CI
                                        ; -- End function
	.section	.AMDGPU.csdata,"",@progbits
; Kernel info:
; codeLenInByte = 19712
; NumSgprs: 48
; NumVgprs: 256
; ScratchSize: 264
; MemoryBound: 0
; FloatMode: 240
; IeeeMode: 1
; LDSByteSize: 24336 bytes/workgroup (compile time only)
; SGPRBlocks: 5
; VGPRBlocks: 31
; NumSGPRsForWavesPerEU: 48
; NumVGPRsForWavesPerEU: 256
; Occupancy: 5
; WaveLimiterHint : 1
; COMPUTE_PGM_RSRC2:SCRATCH_EN: 1
; COMPUTE_PGM_RSRC2:USER_SGPR: 2
; COMPUTE_PGM_RSRC2:TRAP_HANDLER: 0
; COMPUTE_PGM_RSRC2:TGID_X_EN: 1
; COMPUTE_PGM_RSRC2:TGID_Y_EN: 0
; COMPUTE_PGM_RSRC2:TGID_Z_EN: 0
; COMPUTE_PGM_RSRC2:TIDIG_COMP_CNT: 0
	.text
	.p2alignl 7, 3214868480
	.fill 96, 4, 3214868480
	.type	__hip_cuid_f81a7ef4e60c72b,@object ; @__hip_cuid_f81a7ef4e60c72b
	.section	.bss,"aw",@nobits
	.globl	__hip_cuid_f81a7ef4e60c72b
__hip_cuid_f81a7ef4e60c72b:
	.byte	0                               ; 0x0
	.size	__hip_cuid_f81a7ef4e60c72b, 1

	.ident	"AMD clang version 19.0.0git (https://github.com/RadeonOpenCompute/llvm-project roc-6.4.0 25133 c7fe45cf4b819c5991fe208aaa96edf142730f1d)"
	.section	".note.GNU-stack","",@progbits
	.addrsig
	.addrsig_sym __hip_cuid_f81a7ef4e60c72b
	.amdgpu_metadata
---
amdhsa.kernels:
  - .args:
      - .actual_access:  read_only
        .address_space:  global
        .offset:         0
        .size:           8
        .value_kind:     global_buffer
      - .actual_access:  read_only
        .address_space:  global
        .offset:         8
        .size:           8
        .value_kind:     global_buffer
      - .actual_access:  read_only
        .address_space:  global
        .offset:         16
        .size:           8
        .value_kind:     global_buffer
      - .actual_access:  read_only
        .address_space:  global
        .offset:         24
        .size:           8
        .value_kind:     global_buffer
      - .actual_access:  read_only
        .address_space:  global
        .offset:         32
        .size:           8
        .value_kind:     global_buffer
      - .offset:         40
        .size:           8
        .value_kind:     by_value
      - .address_space:  global
        .offset:         48
        .size:           8
        .value_kind:     global_buffer
      - .address_space:  global
        .offset:         56
        .size:           8
        .value_kind:     global_buffer
      - .address_space:  global
        .offset:         64
        .size:           8
        .value_kind:     global_buffer
      - .address_space:  global
        .offset:         72
        .size:           8
        .value_kind:     global_buffer
      - .offset:         80
        .size:           4
        .value_kind:     by_value
      - .address_space:  global
        .offset:         88
        .size:           8
        .value_kind:     global_buffer
      - .address_space:  global
        .offset:         96
        .size:           8
        .value_kind:     global_buffer
    .group_segment_fixed_size: 24336
    .kernarg_segment_align: 8
    .kernarg_segment_size: 104
    .language:       OpenCL C
    .language_version:
      - 2
      - 0
    .max_flat_workgroup_size: 117
    .name:           bluestein_single_back_len507_dim1_dp_op_CI_CI
    .private_segment_fixed_size: 264
    .sgpr_count:     48
    .sgpr_spill_count: 0
    .symbol:         bluestein_single_back_len507_dim1_dp_op_CI_CI.kd
    .uniform_work_group_size: 1
    .uses_dynamic_stack: false
    .vgpr_count:     256
    .vgpr_spill_count: 65
    .wavefront_size: 32
    .workgroup_processor_mode: 1
amdhsa.target:   amdgcn-amd-amdhsa--gfx1201
amdhsa.version:
  - 1
  - 2
...

	.end_amdgpu_metadata
